;; amdgpu-corpus repo=ROCm/rocFFT kind=compiled arch=gfx906 opt=O3
	.text
	.amdgcn_target "amdgcn-amd-amdhsa--gfx906"
	.amdhsa_code_object_version 6
	.protected	fft_rtc_fwd_len1428_factors_17_2_7_6_wgs_119_tpt_119_halfLds_dp_ip_CI_unitstride_sbrr_R2C_dirReg ; -- Begin function fft_rtc_fwd_len1428_factors_17_2_7_6_wgs_119_tpt_119_halfLds_dp_ip_CI_unitstride_sbrr_R2C_dirReg
	.globl	fft_rtc_fwd_len1428_factors_17_2_7_6_wgs_119_tpt_119_halfLds_dp_ip_CI_unitstride_sbrr_R2C_dirReg
	.p2align	8
	.type	fft_rtc_fwd_len1428_factors_17_2_7_6_wgs_119_tpt_119_halfLds_dp_ip_CI_unitstride_sbrr_R2C_dirReg,@function
fft_rtc_fwd_len1428_factors_17_2_7_6_wgs_119_tpt_119_halfLds_dp_ip_CI_unitstride_sbrr_R2C_dirReg: ; @fft_rtc_fwd_len1428_factors_17_2_7_6_wgs_119_tpt_119_halfLds_dp_ip_CI_unitstride_sbrr_R2C_dirReg
; %bb.0:
	s_mov_b64 s[62:63], s[2:3]
	s_mov_b64 s[60:61], s[0:1]
	s_load_dwordx2 s[2:3], s[4:5], 0x50
	s_load_dwordx4 s[8:11], s[4:5], 0x0
	s_load_dwordx2 s[12:13], s[4:5], 0x18
	v_mul_u32_u24_e32 v1, 0x227, v0
	s_add_u32 s60, s60, s7
	v_add_u32_sdwa v5, s6, v1 dst_sel:DWORD dst_unused:UNUSED_PAD src0_sel:DWORD src1_sel:WORD_1
	s_waitcnt lgkmcnt(0)
	v_cmp_lt_u64_e64 s[0:1], s[10:11], 2
	v_mov_b32_e32 v3, 0
	v_mov_b32_e32 v1, 0
	s_addc_u32 s61, s61, 0
	v_mov_b32_e32 v6, v3
	s_and_b64 vcc, exec, s[0:1]
	v_mov_b32_e32 v2, 0
	s_cbranch_vccnz .LBB0_8
; %bb.1:
	s_load_dwordx2 s[0:1], s[4:5], 0x10
	s_add_u32 s6, s12, 8
	s_addc_u32 s7, s13, 0
	v_mov_b32_e32 v1, 0
	v_mov_b32_e32 v2, 0
	s_waitcnt lgkmcnt(0)
	s_add_u32 s14, s0, 8
	s_addc_u32 s15, s1, 0
	s_mov_b64 s[16:17], 1
.LBB0_2:                                ; =>This Inner Loop Header: Depth=1
	s_load_dwordx2 s[18:19], s[14:15], 0x0
                                        ; implicit-def: $vgpr7_vgpr8
	s_waitcnt lgkmcnt(0)
	v_or_b32_e32 v4, s19, v6
	v_cmp_ne_u64_e32 vcc, 0, v[3:4]
	s_and_saveexec_b64 s[0:1], vcc
	s_xor_b64 s[20:21], exec, s[0:1]
	s_cbranch_execz .LBB0_4
; %bb.3:                                ;   in Loop: Header=BB0_2 Depth=1
	v_cvt_f32_u32_e32 v4, s18
	v_cvt_f32_u32_e32 v7, s19
	s_sub_u32 s0, 0, s18
	s_subb_u32 s1, 0, s19
	v_mac_f32_e32 v4, 0x4f800000, v7
	v_rcp_f32_e32 v4, v4
	v_mul_f32_e32 v4, 0x5f7ffffc, v4
	v_mul_f32_e32 v7, 0x2f800000, v4
	v_trunc_f32_e32 v7, v7
	v_mac_f32_e32 v4, 0xcf800000, v7
	v_cvt_u32_f32_e32 v7, v7
	v_cvt_u32_f32_e32 v4, v4
	v_mul_lo_u32 v8, s0, v7
	v_mul_hi_u32 v9, s0, v4
	v_mul_lo_u32 v11, s1, v4
	v_mul_lo_u32 v10, s0, v4
	v_add_u32_e32 v8, v9, v8
	v_add_u32_e32 v8, v8, v11
	v_mul_hi_u32 v9, v4, v10
	v_mul_lo_u32 v11, v4, v8
	v_mul_hi_u32 v13, v4, v8
	v_mul_hi_u32 v12, v7, v10
	v_mul_lo_u32 v10, v7, v10
	v_mul_hi_u32 v14, v7, v8
	v_add_co_u32_e32 v9, vcc, v9, v11
	v_addc_co_u32_e32 v11, vcc, 0, v13, vcc
	v_mul_lo_u32 v8, v7, v8
	v_add_co_u32_e32 v9, vcc, v9, v10
	v_addc_co_u32_e32 v9, vcc, v11, v12, vcc
	v_addc_co_u32_e32 v10, vcc, 0, v14, vcc
	v_add_co_u32_e32 v8, vcc, v9, v8
	v_addc_co_u32_e32 v9, vcc, 0, v10, vcc
	v_add_co_u32_e32 v4, vcc, v4, v8
	v_addc_co_u32_e32 v7, vcc, v7, v9, vcc
	v_mul_lo_u32 v8, s0, v7
	v_mul_hi_u32 v9, s0, v4
	v_mul_lo_u32 v10, s1, v4
	v_mul_lo_u32 v11, s0, v4
	v_add_u32_e32 v8, v9, v8
	v_add_u32_e32 v8, v8, v10
	v_mul_lo_u32 v12, v4, v8
	v_mul_hi_u32 v13, v4, v11
	v_mul_hi_u32 v14, v4, v8
	v_mul_hi_u32 v10, v7, v11
	v_mul_lo_u32 v11, v7, v11
	v_mul_hi_u32 v9, v7, v8
	v_add_co_u32_e32 v12, vcc, v13, v12
	v_addc_co_u32_e32 v13, vcc, 0, v14, vcc
	v_mul_lo_u32 v8, v7, v8
	v_add_co_u32_e32 v11, vcc, v12, v11
	v_addc_co_u32_e32 v10, vcc, v13, v10, vcc
	v_addc_co_u32_e32 v9, vcc, 0, v9, vcc
	v_add_co_u32_e32 v8, vcc, v10, v8
	v_addc_co_u32_e32 v9, vcc, 0, v9, vcc
	v_add_co_u32_e32 v4, vcc, v4, v8
	v_addc_co_u32_e32 v9, vcc, v7, v9, vcc
	v_mad_u64_u32 v[7:8], s[0:1], v5, v9, 0
	v_mul_hi_u32 v10, v5, v4
	v_add_co_u32_e32 v11, vcc, v10, v7
	v_addc_co_u32_e32 v12, vcc, 0, v8, vcc
	v_mad_u64_u32 v[7:8], s[0:1], v6, v4, 0
	v_mad_u64_u32 v[9:10], s[0:1], v6, v9, 0
	v_add_co_u32_e32 v4, vcc, v11, v7
	v_addc_co_u32_e32 v4, vcc, v12, v8, vcc
	v_addc_co_u32_e32 v7, vcc, 0, v10, vcc
	v_add_co_u32_e32 v4, vcc, v4, v9
	v_addc_co_u32_e32 v9, vcc, 0, v7, vcc
	v_mul_lo_u32 v10, s19, v4
	v_mul_lo_u32 v11, s18, v9
	v_mad_u64_u32 v[7:8], s[0:1], s18, v4, 0
	v_add3_u32 v8, v8, v11, v10
	v_sub_u32_e32 v10, v6, v8
	v_mov_b32_e32 v11, s19
	v_sub_co_u32_e32 v7, vcc, v5, v7
	v_subb_co_u32_e64 v10, s[0:1], v10, v11, vcc
	v_subrev_co_u32_e64 v11, s[0:1], s18, v7
	v_subbrev_co_u32_e64 v10, s[0:1], 0, v10, s[0:1]
	v_cmp_le_u32_e64 s[0:1], s19, v10
	v_cndmask_b32_e64 v12, 0, -1, s[0:1]
	v_cmp_le_u32_e64 s[0:1], s18, v11
	v_cndmask_b32_e64 v11, 0, -1, s[0:1]
	v_cmp_eq_u32_e64 s[0:1], s19, v10
	v_cndmask_b32_e64 v10, v12, v11, s[0:1]
	v_add_co_u32_e64 v11, s[0:1], 2, v4
	v_addc_co_u32_e64 v12, s[0:1], 0, v9, s[0:1]
	v_add_co_u32_e64 v13, s[0:1], 1, v4
	v_addc_co_u32_e64 v14, s[0:1], 0, v9, s[0:1]
	v_subb_co_u32_e32 v8, vcc, v6, v8, vcc
	v_cmp_ne_u32_e64 s[0:1], 0, v10
	v_cmp_le_u32_e32 vcc, s19, v8
	v_cndmask_b32_e64 v10, v14, v12, s[0:1]
	v_cndmask_b32_e64 v12, 0, -1, vcc
	v_cmp_le_u32_e32 vcc, s18, v7
	v_cndmask_b32_e64 v7, 0, -1, vcc
	v_cmp_eq_u32_e32 vcc, s19, v8
	v_cndmask_b32_e32 v7, v12, v7, vcc
	v_cmp_ne_u32_e32 vcc, 0, v7
	v_cndmask_b32_e64 v7, v13, v11, s[0:1]
	v_cndmask_b32_e32 v8, v9, v10, vcc
	v_cndmask_b32_e32 v7, v4, v7, vcc
.LBB0_4:                                ;   in Loop: Header=BB0_2 Depth=1
	s_andn2_saveexec_b64 s[0:1], s[20:21]
	s_cbranch_execz .LBB0_6
; %bb.5:                                ;   in Loop: Header=BB0_2 Depth=1
	v_cvt_f32_u32_e32 v4, s18
	s_sub_i32 s20, 0, s18
	v_rcp_iflag_f32_e32 v4, v4
	v_mul_f32_e32 v4, 0x4f7ffffe, v4
	v_cvt_u32_f32_e32 v4, v4
	v_mul_lo_u32 v7, s20, v4
	v_mul_hi_u32 v7, v4, v7
	v_add_u32_e32 v4, v4, v7
	v_mul_hi_u32 v4, v5, v4
	v_mul_lo_u32 v7, v4, s18
	v_add_u32_e32 v8, 1, v4
	v_sub_u32_e32 v7, v5, v7
	v_subrev_u32_e32 v9, s18, v7
	v_cmp_le_u32_e32 vcc, s18, v7
	v_cndmask_b32_e32 v7, v7, v9, vcc
	v_cndmask_b32_e32 v4, v4, v8, vcc
	v_add_u32_e32 v8, 1, v4
	v_cmp_le_u32_e32 vcc, s18, v7
	v_cndmask_b32_e32 v7, v4, v8, vcc
	v_mov_b32_e32 v8, v3
.LBB0_6:                                ;   in Loop: Header=BB0_2 Depth=1
	s_or_b64 exec, exec, s[0:1]
	v_mul_lo_u32 v4, v8, s18
	v_mul_lo_u32 v11, v7, s19
	v_mad_u64_u32 v[9:10], s[0:1], v7, s18, 0
	s_load_dwordx2 s[0:1], s[6:7], 0x0
	s_add_u32 s16, s16, 1
	v_add3_u32 v4, v10, v11, v4
	v_sub_co_u32_e32 v5, vcc, v5, v9
	v_subb_co_u32_e32 v4, vcc, v6, v4, vcc
	s_waitcnt lgkmcnt(0)
	v_mul_lo_u32 v4, s0, v4
	v_mul_lo_u32 v6, s1, v5
	v_mad_u64_u32 v[1:2], s[0:1], s0, v5, v[1:2]
	s_addc_u32 s17, s17, 0
	s_add_u32 s6, s6, 8
	v_add3_u32 v2, v6, v2, v4
	v_mov_b32_e32 v4, s10
	v_mov_b32_e32 v5, s11
	s_addc_u32 s7, s7, 0
	v_cmp_ge_u64_e32 vcc, s[16:17], v[4:5]
	s_add_u32 s14, s14, 8
	s_addc_u32 s15, s15, 0
	s_cbranch_vccnz .LBB0_9
; %bb.7:                                ;   in Loop: Header=BB0_2 Depth=1
	v_mov_b32_e32 v5, v7
	v_mov_b32_e32 v6, v8
	s_branch .LBB0_2
.LBB0_8:
	v_mov_b32_e32 v8, v6
	v_mov_b32_e32 v7, v5
.LBB0_9:
	s_lshl_b64 s[0:1], s[10:11], 3
	s_add_u32 s0, s12, s0
	s_addc_u32 s1, s13, s1
	s_load_dwordx2 s[6:7], s[0:1], 0x0
	s_load_dwordx2 s[10:11], s[4:5], 0x20
	s_waitcnt lgkmcnt(0)
	v_mad_u64_u32 v[1:2], s[0:1], s6, v7, v[1:2]
	s_mov_b32 s0, 0x226b903
	v_mul_lo_u32 v3, s6, v8
	v_mul_lo_u32 v4, s7, v7
	v_mul_hi_u32 v5, v0, s0
	v_cmp_gt_u64_e64 s[0:1], s[10:11], v[7:8]
	v_add3_u32 v2, v4, v2, v3
	v_mul_u32_u24_e32 v3, 0x77, v5
	v_sub_u32_e32 v104, v0, v3
	v_lshlrev_b64 v[229:230], 4, v[1:2]
	v_lshl_add_u32 v228, v104, 4, 0
	s_and_saveexec_b64 s[4:5], s[0:1]
	s_cbranch_execz .LBB0_11
; %bb.10:
	v_mov_b32_e32 v105, 0
	v_mov_b32_e32 v0, s3
	v_add_co_u32_e32 v2, vcc, s2, v229
	v_addc_co_u32_e32 v3, vcc, v0, v230, vcc
	v_lshlrev_b64 v[0:1], 4, v[104:105]
	s_movk_i32 s6, 0x1000
	v_add_co_u32_e32 v39, vcc, v2, v0
	v_addc_co_u32_e32 v40, vcc, v3, v1, vcc
	v_add_co_u32_e32 v24, vcc, s6, v39
	s_movk_i32 s7, 0x2000
	v_addc_co_u32_e32 v25, vcc, 0, v40, vcc
	v_add_co_u32_e32 v32, vcc, s7, v39
	v_addc_co_u32_e32 v33, vcc, 0, v40, vcc
	s_movk_i32 s6, 0x3000
	v_add_co_u32_e32 v41, vcc, s6, v39
	v_addc_co_u32_e32 v42, vcc, 0, v40, vcc
	v_add_co_u32_e32 v48, vcc, 0x4000, v39
	v_addc_co_u32_e32 v49, vcc, 0, v40, vcc
	v_add_co_u32_e32 v50, vcc, 0x5000, v39
	global_load_dwordx4 v[0:3], v[39:40], off
	global_load_dwordx4 v[4:7], v[39:40], off offset:1904
	global_load_dwordx4 v[8:11], v[39:40], off offset:3808
	;; [unrolled: 1-line block ×5, first 2 shown]
	s_nop 0
	global_load_dwordx4 v[24:27], v[32:33], off offset:3232
	global_load_dwordx4 v[28:31], v[41:42], off offset:1040
	s_nop 0
	global_load_dwordx4 v[32:35], v[41:42], off offset:2944
	global_load_dwordx4 v[36:39], v[48:49], off offset:752
	v_addc_co_u32_e32 v51, vcc, 0, v40, vcc
	global_load_dwordx4 v[40:43], v[48:49], off offset:2656
	global_load_dwordx4 v[44:47], v[50:51], off offset:464
	s_waitcnt vmcnt(11)
	ds_write_b128 v228, v[0:3]
	s_waitcnt vmcnt(10)
	ds_write_b128 v228, v[4:7] offset:1904
	s_waitcnt vmcnt(9)
	ds_write_b128 v228, v[8:11] offset:3808
	;; [unrolled: 2-line block ×11, first 2 shown]
.LBB0_11:
	s_or_b64 exec, exec, s[4:5]
	s_waitcnt lgkmcnt(0)
	s_barrier
	ds_read_b128 v[8:11], v228 offset:21504
	ds_read_b128 v[16:19], v228 offset:1344
	ds_read_b128 v[20:23], v228
	ds_read_b128 v[12:15], v228 offset:20160
	ds_read_b128 v[28:31], v228 offset:2688
	s_mov_b32 s4, 0xeb564b22
	s_waitcnt lgkmcnt(3)
	v_add_f64 v[112:113], v[18:19], -v[10:11]
	v_add_f64 v[110:111], v[16:17], -v[8:9]
	s_mov_b32 s5, 0xbfefdd0d
	v_add_f64 v[108:109], v[16:17], v[8:9]
	s_waitcnt lgkmcnt(0)
	v_add_f64 v[118:119], v[30:31], -v[14:15]
	v_add_f64 v[146:147], v[18:19], v[10:11]
	v_add_f64 v[116:117], v[28:29], -v[12:13]
	ds_read_b128 v[32:35], v228 offset:4032
	ds_read_b128 v[24:27], v228 offset:18816
	v_mul_f64 v[88:89], v[112:113], s[4:5]
	v_mul_f64 v[174:175], v[110:111], s[4:5]
	s_mov_b32 s12, 0x3259b75e
	s_mov_b32 s10, 0xacd6c6b4
	;; [unrolled: 1-line block ×4, first 2 shown]
	v_add_f64 v[114:115], v[28:29], v[12:13]
	v_mul_f64 v[100:101], v[118:119], s[10:11]
	v_fma_f64 v[0:1], v[108:109], s[12:13], v[88:89]
	v_fma_f64 v[2:3], v[146:147], s[12:13], -v[174:175]
	v_add_f64 v[148:149], v[30:31], v[14:15]
	v_mul_f64 v[98:99], v[116:117], s[10:11]
	s_waitcnt lgkmcnt(0)
	v_add_f64 v[124:125], v[34:35], -v[26:27]
	v_add_f64 v[122:123], v[32:33], -v[24:25]
	ds_read_b128 v[36:39], v228 offset:17472
	ds_read_b128 v[44:47], v228 offset:5376
	s_mov_b32 s6, 0x7faef3
	s_mov_b32 s14, 0x923c349f
	;; [unrolled: 1-line block ×6, first 2 shown]
	v_add_f64 v[0:1], v[20:21], v[0:1]
	v_fma_f64 v[4:5], v[114:115], s[6:7], v[100:101]
	v_add_f64 v[2:3], v[22:23], v[2:3]
	v_fma_f64 v[6:7], v[148:149], s[6:7], -v[98:99]
	v_add_f64 v[120:121], v[32:33], v[24:25]
	v_mul_f64 v[102:103], v[124:125], s[16:17]
	v_add_f64 v[130:131], v[34:35], v[26:27]
	v_mul_f64 v[176:177], v[122:123], s[16:17]
	s_waitcnt lgkmcnt(0)
	v_add_f64 v[132:133], v[46:47], -v[38:39]
	v_add_f64 v[128:129], v[44:45], -v[36:37]
	ds_read_b128 v[48:51], v228 offset:6720
	ds_read_b128 v[40:43], v228 offset:16128
	s_mov_b32 s18, 0xc61f0d01
	s_mov_b32 s38, 0x5d8e7cdc
	;; [unrolled: 1-line block ×4, first 2 shown]
	v_add_f64 v[0:1], v[4:5], v[0:1]
	v_add_f64 v[2:3], v[6:7], v[2:3]
	v_fma_f64 v[4:5], v[120:121], s[18:19], v[102:103]
	v_fma_f64 v[6:7], v[130:131], s[18:19], -v[176:177]
	v_add_f64 v[126:127], v[44:45], v[36:37]
	v_mul_f64 v[178:179], v[132:133], s[38:39]
	v_add_f64 v[140:141], v[46:47], v[38:39]
	v_mul_f64 v[182:183], v[128:129], s[38:39]
	s_waitcnt lgkmcnt(0)
	v_add_f64 v[138:139], v[50:51], -v[42:43]
	v_add_f64 v[136:137], v[48:49], -v[40:41]
	ds_read_b128 v[52:55], v228 offset:14784
	ds_read_b128 v[56:59], v228 offset:8064
	s_mov_b32 s20, 0x370991
	s_mov_b32 s22, 0x7c9e640b
	;; [unrolled: 1-line block ×4, first 2 shown]
	v_add_f64 v[0:1], v[4:5], v[0:1]
	v_add_f64 v[2:3], v[6:7], v[2:3]
	v_fma_f64 v[4:5], v[126:127], s[20:21], v[178:179]
	v_fma_f64 v[6:7], v[140:141], s[20:21], -v[182:183]
	v_add_f64 v[134:135], v[48:49], v[40:41]
	v_mul_f64 v[172:173], v[138:139], s[22:23]
	v_add_f64 v[150:151], v[50:51], v[42:43]
	v_mul_f64 v[184:185], v[136:137], s[22:23]
	s_waitcnt lgkmcnt(0)
	v_add_f64 v[152:153], v[58:59], -v[54:55]
	v_add_f64 v[144:145], v[56:57], -v[52:53]
	s_mov_b32 s24, 0x2b2883cd
	s_mov_b32 s34, 0x4363dd80
	;; [unrolled: 1-line block ×6, first 2 shown]
	v_add_f64 v[0:1], v[4:5], v[0:1]
	v_add_f64 v[2:3], v[6:7], v[2:3]
	v_fma_f64 v[4:5], v[134:135], s[24:25], v[172:173]
	v_fma_f64 v[6:7], v[150:151], s[24:25], -v[184:185]
	v_add_f64 v[142:143], v[56:57], v[52:53]
	v_mul_f64 v[180:181], v[152:153], s[26:27]
	v_add_f64 v[154:155], v[58:59], v[54:55]
	v_mul_f64 v[188:189], v[144:145], s[26:27]
	v_mul_f64 v[212:213], v[112:113], s[14:15]
	;; [unrolled: 1-line block ×3, first 2 shown]
	s_mov_b32 s30, 0x910ea3b9
	s_mov_b32 s31, 0xbfeb34fa
	v_add_f64 v[0:1], v[4:5], v[0:1]
	v_add_f64 v[2:3], v[6:7], v[2:3]
	v_fma_f64 v[4:5], v[142:143], s[30:31], v[180:181]
	v_fma_f64 v[6:7], v[154:155], s[30:31], -v[188:189]
	v_fma_f64 v[68:69], v[108:109], s[18:19], v[212:213]
	v_mul_f64 v[208:209], v[118:119], s[34:35]
	v_fma_f64 v[70:71], v[146:147], s[18:19], -v[226:227]
	v_mul_f64 v[224:225], v[116:117], s[34:35]
	s_mov_b32 s46, 0x2a9d6da3
	s_mov_b32 s47, 0x3fe58eea
	v_add_f64 v[0:1], v[4:5], v[0:1]
	v_add_f64 v[2:3], v[6:7], v[2:3]
	;; [unrolled: 1-line block ×3, first 2 shown]
	v_fma_f64 v[6:7], v[114:115], s[30:31], v[208:209]
	v_add_f64 v[68:69], v[22:23], v[70:71]
	v_fma_f64 v[70:71], v[148:149], s[30:31], -v[224:225]
	v_mul_f64 v[210:211], v[124:125], s[46:47]
	v_mul_f64 v[222:223], v[122:123], s[46:47]
	s_mov_b32 s40, 0x75d4884
	s_mov_b32 s41, 0x3fe7a5f6
	v_mul_f64 v[204:205], v[132:133], s[22:23]
	v_add_f64 v[4:5], v[6:7], v[4:5]
	v_mul_f64 v[220:221], v[128:129], s[22:23]
	v_add_f64 v[6:7], v[70:71], v[68:69]
	v_fma_f64 v[68:69], v[120:121], s[40:41], v[210:211]
	v_fma_f64 v[70:71], v[130:131], s[40:41], -v[222:223]
	v_mul_f64 v[206:207], v[138:139], s[10:11]
	v_mul_f64 v[216:217], v[136:137], s[10:11]
	v_fma_f64 v[76:77], v[126:127], s[24:25], v[204:205]
	ds_read_b128 v[64:67], v228 offset:9408
	ds_read_b128 v[60:63], v228 offset:13440
	v_fma_f64 v[78:79], v[140:141], s[24:25], -v[220:221]
	s_mov_b32 s51, 0x3fefdd0d
	v_add_f64 v[4:5], v[68:69], v[4:5]
	v_add_f64 v[6:7], v[70:71], v[6:7]
	s_mov_b32 s50, s4
	s_waitcnt lgkmcnt(0)
	v_add_f64 v[164:165], v[66:67], -v[62:63]
	v_add_f64 v[158:159], v[64:65], -v[60:61]
	v_mul_f64 v[214:215], v[152:153], s[50:51]
	v_mul_f64 v[218:219], v[144:145], s[50:51]
	ds_read_b128 v[72:75], v228 offset:10752
	ds_read_b128 v[68:71], v228 offset:12096
	v_add_f64 v[4:5], v[76:77], v[4:5]
	v_add_f64 v[6:7], v[78:79], v[6:7]
	v_fma_f64 v[76:77], v[134:135], s[6:7], v[206:207]
	v_fma_f64 v[78:79], v[150:151], s[6:7], -v[216:217]
	s_mov_b32 s44, 0x6c9a05f6
	s_mov_b32 s45, 0x3fe9895b
	;; [unrolled: 1-line block ×4, first 2 shown]
	v_add_f64 v[156:157], v[64:65], v[60:61]
	v_mul_f64 v[190:191], v[164:165], s[44:45]
	v_add_f64 v[166:167], v[66:67], v[62:63]
	v_mul_f64 v[192:193], v[158:159], s[44:45]
	s_waitcnt lgkmcnt(0)
	v_add_f64 v[168:169], v[74:75], -v[70:71]
	v_add_f64 v[160:161], v[72:73], -v[68:69]
	v_add_f64 v[4:5], v[76:77], v[4:5]
	v_add_f64 v[6:7], v[78:79], v[6:7]
	v_fma_f64 v[76:77], v[142:143], s[12:13], v[214:215]
	v_fma_f64 v[78:79], v[154:155], s[12:13], -v[218:219]
	v_mul_f64 v[196:197], v[164:165], s[48:49]
	v_mul_f64 v[198:199], v[158:159], s[48:49]
	s_mov_b32 s36, 0x6ed5f1bb
	s_mov_b32 s37, 0xbfe348c8
	;; [unrolled: 1-line block ×4, first 2 shown]
	v_fma_f64 v[80:81], v[156:157], s[36:37], v[190:191]
	v_fma_f64 v[82:83], v[166:167], s[36:37], -v[192:193]
	v_add_f64 v[162:163], v[72:73], v[68:69]
	v_mul_f64 v[186:187], v[168:169], s[46:47]
	v_add_f64 v[170:171], v[74:75], v[70:71]
	v_mul_f64 v[194:195], v[160:161], s[46:47]
	v_add_f64 v[4:5], v[76:77], v[4:5]
	v_add_f64 v[6:7], v[78:79], v[6:7]
	v_fma_f64 v[76:77], v[156:157], s[20:21], v[196:197]
	v_fma_f64 v[78:79], v[166:167], s[20:21], -v[198:199]
	v_mul_f64 v[200:201], v[168:169], s[42:43]
	v_mul_f64 v[202:203], v[160:161], s[42:43]
	v_add_f64 v[0:1], v[80:81], v[0:1]
	v_add_f64 v[2:3], v[82:83], v[2:3]
	v_fma_f64 v[80:81], v[162:163], s[40:41], v[186:187]
	v_fma_f64 v[82:83], v[170:171], s[40:41], -v[194:195]
	v_add_f64 v[76:77], v[76:77], v[4:5]
	v_add_f64 v[78:79], v[78:79], v[6:7]
	v_fma_f64 v[84:85], v[162:163], s[36:37], v[200:201]
	v_fma_f64 v[86:87], v[170:171], s[36:37], -v[202:203]
	s_movk_i32 s28, 0x54
	v_cmp_gt_u32_e32 vcc, s28, v104
	v_add_f64 v[4:5], v[80:81], v[0:1]
	v_add_f64 v[6:7], v[82:83], v[2:3]
	s_barrier
	v_add_f64 v[0:1], v[84:85], v[76:77]
	v_add_f64 v[2:3], v[86:87], v[78:79]
	s_and_saveexec_b64 s[28:29], vcc
	s_cbranch_execz .LBB0_13
; %bb.12:
	v_mul_f64 v[76:77], v[146:147], s[6:7]
	v_mul_f64 v[78:79], v[112:113], s[10:11]
	s_mov_b32 s53, 0x3fc7851a
	s_mov_b32 s52, s10
	buffer_store_dword v88, off, s[60:63], 0 offset:24 ; 4-byte Folded Spill
	s_nop 0
	buffer_store_dword v89, off, s[60:63], 0 offset:28 ; 4-byte Folded Spill
	v_mul_f64 v[86:87], v[148:149], s[20:21]
	v_mul_f64 v[92:93], v[118:119], s[38:39]
	;; [unrolled: 1-line block ×3, first 2 shown]
	v_fma_f64 v[88:89], v[110:111], s[52:53], v[76:77]
	v_fma_f64 v[94:95], v[108:109], s[6:7], v[78:79]
	v_mul_f64 v[235:236], v[124:125], s[26:27]
	buffer_store_dword v229, off, s[60:63], 0 ; 4-byte Folded Spill
	s_nop 0
	buffer_store_dword v230, off, s[60:63], 0 offset:4 ; 4-byte Folded Spill
	v_mul_f64 v[229:230], v[140:141], s[40:41]
	v_fma_f64 v[233:234], v[116:117], s[48:49], v[86:87]
	v_fma_f64 v[237:238], v[114:115], s[20:21], v[92:93]
	;; [unrolled: 1-line block ×3, first 2 shown]
	v_add_f64 v[88:89], v[22:23], v[88:89]
	v_add_f64 v[94:95], v[20:21], v[94:95]
	v_fma_f64 v[245:246], v[120:121], s[30:31], v[235:236]
	v_fma_f64 v[76:77], v[110:111], s[10:11], v[76:77]
	s_mov_b32 s55, 0xbfe58eea
	s_mov_b32 s54, s46
	v_mul_f64 v[90:91], v[150:151], s[36:37]
	v_fma_f64 v[247:248], v[128:129], s[54:55], v[229:230]
	v_add_f64 v[88:89], v[233:234], v[88:89]
	v_mul_f64 v[233:234], v[132:133], s[46:47]
	v_add_f64 v[94:95], v[237:238], v[94:95]
	v_mul_f64 v[237:238], v[138:139], s[42:43]
	v_fma_f64 v[78:79], v[108:109], s[6:7], -v[78:79]
	v_fma_f64 v[86:87], v[116:117], s[38:39], v[86:87]
	v_add_f64 v[76:77], v[22:23], v[76:77]
	s_mov_b32 s57, 0x3feca52d
	v_add_f64 v[88:89], v[243:244], v[88:89]
	v_fma_f64 v[243:244], v[126:127], s[40:41], v[233:234]
	v_add_f64 v[94:95], v[245:246], v[94:95]
	s_mov_b32 s56, s22
	v_mul_f64 v[84:85], v[154:155], s[24:25]
	v_mul_f64 v[245:246], v[152:153], s[56:57]
	v_fma_f64 v[249:250], v[136:137], s[44:45], v[90:91]
	v_fma_f64 v[92:93], v[114:115], s[20:21], -v[92:93]
	v_add_f64 v[88:89], v[247:248], v[88:89]
	v_fma_f64 v[247:248], v[134:135], s[36:37], v[237:238]
	v_add_f64 v[94:95], v[243:244], v[94:95]
	v_add_f64 v[78:79], v[20:21], v[78:79]
	v_fma_f64 v[231:232], v[122:123], s[26:27], v[231:232]
	v_add_f64 v[76:77], v[86:87], v[76:77]
	v_mul_f64 v[82:83], v[166:167], s[18:19]
	v_mul_f64 v[241:242], v[164:165], s[14:15]
	v_fma_f64 v[243:244], v[144:145], s[22:23], v[84:85]
	v_add_f64 v[88:89], v[249:250], v[88:89]
	v_fma_f64 v[86:87], v[142:143], s[24:25], v[245:246]
	v_add_f64 v[94:95], v[247:248], v[94:95]
	v_fma_f64 v[235:236], v[120:121], s[30:31], -v[235:236]
	v_add_f64 v[78:79], v[92:93], v[78:79]
	v_fma_f64 v[229:230], v[128:129], s[46:47], v[229:230]
	v_add_f64 v[76:77], v[231:232], v[76:77]
	v_mul_f64 v[80:81], v[170:171], s[12:13]
	v_mul_f64 v[239:240], v[168:169], s[50:51]
	v_fma_f64 v[92:93], v[158:159], s[16:17], v[82:83]
	v_add_f64 v[88:89], v[243:244], v[88:89]
	v_fma_f64 v[231:232], v[156:157], s[18:19], v[241:242]
	v_add_f64 v[86:87], v[86:87], v[94:95]
	v_fma_f64 v[94:95], v[126:127], s[40:41], -v[233:234]
	v_add_f64 v[78:79], v[235:236], v[78:79]
	v_fma_f64 v[90:91], v[136:137], s[42:43], v[90:91]
	v_add_f64 v[76:77], v[229:230], v[76:77]
	v_fma_f64 v[233:234], v[160:161], s[4:5], v[80:81]
	;; [unrolled: 2-line block ×3, first 2 shown]
	v_add_f64 v[86:87], v[231:232], v[86:87]
	v_fma_f64 v[229:230], v[134:135], s[36:37], -v[237:238]
	v_add_f64 v[94:95], v[94:95], v[78:79]
	v_fma_f64 v[84:85], v[144:145], s[56:57], v[84:85]
	v_mul_f64 v[231:232], v[146:147], s[30:31]
	v_add_f64 v[90:91], v[90:91], v[76:77]
	v_add_f64 v[78:79], v[233:234], v[88:89]
	v_fma_f64 v[82:83], v[158:159], s[14:15], v[82:83]
	v_add_f64 v[76:77], v[92:93], v[86:87]
	v_fma_f64 v[86:87], v[142:143], s[24:25], -v[245:246]
	v_add_f64 v[88:89], v[229:230], v[94:95]
	v_mul_f64 v[92:93], v[148:149], s[24:25]
	v_fma_f64 v[94:95], v[110:111], s[34:35], v[231:232]
	v_add_f64 v[84:85], v[84:85], v[90:91]
	v_mul_f64 v[90:91], v[112:113], s[26:27]
	v_fma_f64 v[229:230], v[156:157], s[18:19], -v[241:242]
	v_fma_f64 v[80:81], v[160:161], s[50:51], v[80:81]
	v_fma_f64 v[237:238], v[162:163], s[12:13], -v[239:240]
	v_add_f64 v[86:87], v[86:87], v[88:89]
	v_mul_f64 v[88:89], v[130:131], s[12:13]
	v_fma_f64 v[233:234], v[116:117], s[22:23], v[92:93]
	v_add_f64 v[94:95], v[22:23], v[94:95]
	v_add_f64 v[82:83], v[82:83], v[84:85]
	v_mul_f64 v[84:85], v[118:119], s[56:57]
	v_fma_f64 v[235:236], v[108:109], s[30:31], v[90:91]
	v_mul_f64 v[245:246], v[154:155], s[6:7]
	v_add_f64 v[86:87], v[229:230], v[86:87]
	v_mul_f64 v[229:230], v[140:141], s[36:37]
	v_fma_f64 v[239:240], v[122:123], s[50:51], v[88:89]
	v_add_f64 v[94:95], v[233:234], v[94:95]
	v_mul_f64 v[233:234], v[124:125], s[4:5]
	v_fma_f64 v[241:242], v[114:115], s[24:25], v[84:85]
	v_add_f64 v[235:236], v[20:21], v[235:236]
	v_add_f64 v[82:83], v[80:81], v[82:83]
	;; [unrolled: 1-line block ×3, first 2 shown]
	v_mul_f64 v[86:87], v[150:151], s[20:21]
	v_fma_f64 v[237:238], v[128:129], s[42:43], v[229:230]
	v_add_f64 v[94:95], v[239:240], v[94:95]
	v_mul_f64 v[239:240], v[132:133], s[44:45]
	v_fma_f64 v[243:244], v[120:121], s[12:13], v[233:234]
	v_add_f64 v[235:236], v[241:242], v[235:236]
	v_fma_f64 v[231:232], v[110:111], s[26:27], v[231:232]
	v_fma_f64 v[92:93], v[116:117], s[56:57], v[92:93]
	;; [unrolled: 1-line block ×4, first 2 shown]
	v_add_f64 v[94:95], v[237:238], v[94:95]
	v_fma_f64 v[249:250], v[126:127], s[36:37], v[239:240]
	v_mul_f64 v[237:238], v[166:167], s[40:41]
	v_add_f64 v[235:236], v[243:244], v[235:236]
	v_mul_f64 v[243:244], v[138:139], s[48:49]
	v_add_f64 v[231:232], v[22:23], v[231:232]
	v_fma_f64 v[90:91], v[108:109], s[30:31], -v[90:91]
	v_fma_f64 v[88:89], v[122:123], s[4:5], v[88:89]
	v_add_f64 v[94:95], v[247:248], v[94:95]
	v_fma_f64 v[84:85], v[114:115], s[24:25], -v[84:85]
	v_mul_f64 v[247:248], v[152:153], s[10:11]
	v_add_f64 v[235:236], v[249:250], v[235:236]
	v_fma_f64 v[249:250], v[134:135], s[20:21], v[243:244]
	v_add_f64 v[92:93], v[92:93], v[231:232]
	v_fma_f64 v[231:232], v[158:159], s[54:55], v[237:238]
	v_add_f64 v[90:91], v[20:21], v[90:91]
	v_add_f64 v[94:95], v[251:252], v[94:95]
	v_fma_f64 v[229:230], v[128:129], s[44:45], v[229:230]
	v_fma_f64 v[233:234], v[120:121], s[12:13], -v[233:234]
	v_fma_f64 v[251:252], v[142:143], s[6:7], v[247:248]
	v_add_f64 v[235:236], v[249:250], v[235:236]
	v_mul_f64 v[249:250], v[146:147], s[36:37]
	v_add_f64 v[88:89], v[88:89], v[92:93]
	v_add_f64 v[84:85], v[84:85], v[90:91]
	;; [unrolled: 1-line block ×3, first 2 shown]
	v_mul_f64 v[231:232], v[148:149], s[18:19]
	v_mul_f64 v[92:93], v[164:165], s[46:47]
	;; [unrolled: 1-line block ×3, first 2 shown]
	v_add_f64 v[235:236], v[251:252], v[235:236]
	v_fma_f64 v[94:95], v[110:111], s[44:45], v[249:250]
	v_add_f64 v[88:89], v[229:230], v[88:89]
	v_fma_f64 v[229:230], v[126:127], s[36:37], -v[239:240]
	v_add_f64 v[84:85], v[233:234], v[84:85]
	v_mul_f64 v[233:234], v[130:131], s[20:21]
	v_fma_f64 v[239:240], v[116:117], s[14:15], v[231:232]
	v_fma_f64 v[251:252], v[156:157], s[40:41], v[92:93]
	;; [unrolled: 1-line block ×3, first 2 shown]
	v_add_f64 v[94:95], v[22:23], v[94:95]
	v_fma_f64 v[243:244], v[134:135], s[20:21], -v[243:244]
	v_mul_f64 v[253:254], v[168:169], s[14:15]
	v_add_f64 v[84:85], v[229:230], v[84:85]
	v_fma_f64 v[229:230], v[122:123], s[38:39], v[233:234]
	v_fma_f64 v[245:246], v[144:145], s[10:11], v[245:246]
	v_add_f64 v[235:236], v[251:252], v[235:236]
	v_fma_f64 v[251:252], v[160:161], s[16:17], v[241:242]
	v_add_f64 v[94:95], v[239:240], v[94:95]
	v_mul_f64 v[239:240], v[140:141], s[30:31]
	v_add_f64 v[88:89], v[86:87], v[88:89]
	v_fma_f64 v[247:248], v[142:143], s[6:7], -v[247:248]
	v_add_f64 v[84:85], v[243:244], v[84:85]
	v_mul_f64 v[243:244], v[150:151], s[12:13]
	v_fma_f64 v[92:93], v[156:157], s[40:41], -v[92:93]
	v_add_f64 v[86:87], v[251:252], v[90:91]
	v_add_f64 v[94:95], v[229:230], v[94:95]
	v_fma_f64 v[229:230], v[128:129], s[34:35], v[239:240]
	v_fma_f64 v[90:91], v[158:159], s[46:47], v[237:238]
	v_add_f64 v[88:89], v[245:246], v[88:89]
	v_fma_f64 v[237:238], v[162:163], s[18:19], v[253:254]
	v_add_f64 v[84:85], v[247:248], v[84:85]
	v_fma_f64 v[245:246], v[136:137], s[4:5], v[243:244]
	v_mul_f64 v[247:248], v[112:113], s[42:43]
	v_fma_f64 v[241:242], v[160:161], s[14:15], v[241:242]
	v_add_f64 v[94:95], v[229:230], v[94:95]
	v_mul_f64 v[229:230], v[154:155], s[40:41]
	v_add_f64 v[88:89], v[90:91], v[88:89]
	v_fma_f64 v[251:252], v[162:163], s[18:19], -v[253:254]
	v_add_f64 v[92:93], v[92:93], v[84:85]
	v_mul_f64 v[253:254], v[166:167], s[6:7]
	v_add_f64 v[84:85], v[237:238], v[235:236]
	v_mul_f64 v[235:236], v[118:119], s[16:17]
	v_add_f64 v[94:95], v[245:246], v[94:95]
	v_fma_f64 v[245:246], v[144:145], s[46:47], v[229:230]
	v_fma_f64 v[237:238], v[108:109], s[36:37], v[247:248]
	v_add_f64 v[90:91], v[241:242], v[88:89]
	v_add_f64 v[88:89], v[251:252], v[92:93]
	v_fma_f64 v[92:93], v[158:159], s[52:53], v[253:254]
	v_mul_f64 v[241:242], v[124:125], s[48:49]
	buffer_store_dword v76, off, s[60:63], 0 offset:8 ; 4-byte Folded Spill
	s_nop 0
	buffer_store_dword v77, off, s[60:63], 0 offset:12 ; 4-byte Folded Spill
	buffer_store_dword v78, off, s[60:63], 0 offset:16 ; 4-byte Folded Spill
	;; [unrolled: 1-line block ×3, first 2 shown]
	v_mul_f64 v[78:79], v[170:171], s[24:25]
	v_add_f64 v[94:95], v[245:246], v[94:95]
	v_fma_f64 v[245:246], v[114:115], s[18:19], v[235:236]
	v_add_f64 v[237:238], v[20:21], v[237:238]
	v_mul_f64 v[96:97], v[168:169], s[56:57]
	v_fma_f64 v[231:232], v[116:117], s[16:17], v[231:232]
	v_fma_f64 v[229:230], v[144:145], s[54:55], v[229:230]
	v_add_f64 v[18:19], v[22:23], v[18:19]
	v_add_f64 v[16:17], v[20:21], v[16:17]
	;; [unrolled: 1-line block ×3, first 2 shown]
	v_fma_f64 v[94:95], v[120:121], s[20:21], v[241:242]
	v_add_f64 v[237:238], v[245:246], v[237:238]
	v_mul_f64 v[245:246], v[132:133], s[26:27]
	v_add_f64 v[18:19], v[18:19], v[30:31]
	v_add_f64 v[16:17], v[16:17], v[28:29]
	v_mul_f64 v[30:31], v[140:141], s[12:13]
	v_add_f64 v[94:95], v[94:95], v[237:238]
	v_fma_f64 v[237:238], v[126:127], s[30:31], v[245:246]
	v_add_f64 v[18:19], v[18:19], v[34:35]
	v_add_f64 v[16:17], v[16:17], v[32:33]
	v_mul_f64 v[32:33], v[150:151], s[18:19]
	v_fma_f64 v[34:35], v[128:129], s[50:51], v[30:31]
	v_fma_f64 v[30:31], v[128:129], s[4:5], v[30:31]
	v_add_f64 v[94:95], v[237:238], v[94:95]
	v_mul_f64 v[237:238], v[138:139], s[50:51]
	v_add_f64 v[18:19], v[18:19], v[46:47]
	v_add_f64 v[16:17], v[16:17], v[44:45]
	v_mul_f64 v[44:45], v[154:155], s[36:37]
	v_fma_f64 v[46:47], v[136:137], s[16:17], v[32:33]
	v_fma_f64 v[32:33], v[136:137], s[14:15], v[32:33]
	;; [unrolled: 1-line block ×3, first 2 shown]
	v_fma_f64 v[237:238], v[134:135], s[12:13], -v[237:238]
	v_add_f64 v[18:19], v[18:19], v[50:51]
	v_add_f64 v[48:49], v[16:17], v[48:49]
	v_mul_f64 v[50:51], v[166:167], s[30:31]
	v_add_f64 v[94:95], v[251:252], v[94:95]
	v_mul_f64 v[251:252], v[152:153], s[54:55]
	v_add_f64 v[18:19], v[18:19], v[58:59]
	v_add_f64 v[48:49], v[48:49], v[56:57]
	v_mul_f64 v[56:57], v[170:171], s[6:7]
	v_fma_f64 v[58:59], v[158:159], s[34:35], v[50:51]
	v_fma_f64 v[105:106], v[142:143], s[40:41], v[251:252]
	v_add_f64 v[18:19], v[18:19], v[66:67]
	v_add_f64 v[48:49], v[48:49], v[64:65]
	v_mul_f64 v[64:65], v[112:113], s[48:49]
	v_mul_f64 v[66:67], v[152:153], s[42:43]
	v_add_f64 v[94:95], v[105:106], v[94:95]
	v_mul_f64 v[105:106], v[164:165], s[10:11]
	v_add_f64 v[18:19], v[18:19], v[74:75]
	v_add_f64 v[48:49], v[48:49], v[72:73]
	v_fma_f64 v[72:73], v[108:109], s[20:21], -v[64:65]
	v_fma_f64 v[64:65], v[108:109], s[20:21], v[64:65]
	v_mul_f64 v[74:75], v[124:125], s[22:23]
	v_fma_f64 v[76:77], v[156:157], s[6:7], v[105:106]
	v_fma_f64 v[105:106], v[156:157], s[6:7], -v[105:106]
	v_add_f64 v[18:19], v[18:19], v[70:71]
	v_add_f64 v[48:49], v[48:49], v[68:69]
	;; [unrolled: 1-line block ×3, first 2 shown]
	v_fma_f64 v[72:73], v[120:121], s[24:25], -v[74:75]
	v_add_f64 v[76:77], v[76:77], v[94:95]
	v_fma_f64 v[94:95], v[160:161], s[22:23], v[78:79]
	v_fma_f64 v[78:79], v[160:161], s[56:57], v[78:79]
	v_add_f64 v[18:19], v[18:19], v[62:63]
	v_add_f64 v[48:49], v[48:49], v[60:61]
	v_fma_f64 v[62:63], v[120:121], s[24:25], v[74:75]
	v_add_f64 v[94:95], v[94:95], v[92:93]
	v_fma_f64 v[92:93], v[162:163], s[24:25], v[96:97]
	v_add_f64 v[18:19], v[18:19], v[54:55]
	v_add_f64 v[48:49], v[48:49], v[52:53]
	;; [unrolled: 1-line block ×3, first 2 shown]
	v_fma_f64 v[76:77], v[110:111], s[42:43], v[249:250]
	v_add_f64 v[18:19], v[18:19], v[42:43]
	v_add_f64 v[40:41], v[48:49], v[40:41]
	v_add_f64 v[76:77], v[22:23], v[76:77]
	v_add_f64 v[18:19], v[18:19], v[38:39]
	v_add_f64 v[36:37], v[40:41], v[36:37]
	v_fma_f64 v[38:39], v[142:143], s[36:37], v[66:67]
	v_fma_f64 v[40:41], v[158:159], s[26:27], v[50:51]
	v_add_f64 v[76:77], v[231:232], v[76:77]
	v_fma_f64 v[231:232], v[122:123], s[48:49], v[233:234]
	v_fma_f64 v[233:234], v[114:115], s[18:19], -v[235:236]
	v_fma_f64 v[235:236], v[136:137], s[50:51], v[243:244]
	v_fma_f64 v[243:244], v[142:143], s[40:41], -v[251:252]
	v_add_f64 v[18:19], v[18:19], v[26:27]
	v_add_f64 v[24:25], v[36:37], v[24:25]
	;; [unrolled: 1-line block ×3, first 2 shown]
	v_fma_f64 v[231:232], v[128:129], s[26:27], v[239:240]
	v_fma_f64 v[239:240], v[126:127], s[30:31], -v[245:246]
	v_mul_f64 v[245:246], v[170:171], s[40:41]
	v_add_f64 v[14:15], v[18:19], v[14:15]
	v_add_f64 v[18:19], v[24:25], v[12:13]
	;; [unrolled: 1-line block ×3, first 2 shown]
	v_fma_f64 v[231:232], v[108:109], s[36:37], -v[247:248]
	v_add_f64 v[18:19], v[18:19], v[8:9]
	v_lshl_add_u32 v8, v104, 8, v228
	v_add_f64 v[76:77], v[235:236], v[76:77]
	v_add_f64 v[231:232], v[20:21], v[231:232]
	v_mul_f64 v[235:236], v[108:109], s[12:13]
	v_add_f64 v[76:77], v[229:230], v[76:77]
	v_add_f64 v[231:232], v[233:234], v[231:232]
	v_fma_f64 v[233:234], v[120:121], s[20:21], -v[241:242]
	v_fma_f64 v[241:242], v[158:159], s[10:11], v[253:254]
	v_mul_f64 v[229:230], v[108:109], s[18:19]
	v_add_f64 v[231:232], v[233:234], v[231:232]
	v_mul_f64 v[233:234], v[146:147], s[18:19]
	v_add_f64 v[76:77], v[241:242], v[76:77]
	v_mul_f64 v[241:242], v[114:115], s[30:31]
	v_add_f64 v[212:213], v[229:230], -v[212:213]
	v_mul_f64 v[229:230], v[120:121], s[40:41]
	v_add_f64 v[231:232], v[239:240], v[231:232]
	v_add_f64 v[226:227], v[226:227], v[233:234]
	v_mul_f64 v[233:234], v[148:149], s[30:31]
	v_mul_f64 v[239:240], v[130:131], s[40:41]
	v_add_f64 v[208:209], v[241:242], -v[208:209]
	v_add_f64 v[212:213], v[20:21], v[212:213]
	v_mul_f64 v[241:242], v[126:127], s[24:25]
	v_add_f64 v[210:211], v[229:230], -v[210:211]
	v_add_f64 v[231:232], v[237:238], v[231:232]
	v_mul_f64 v[237:238], v[148:149], s[6:7]
	v_add_f64 v[224:225], v[224:225], v[233:234]
	v_mul_f64 v[233:234], v[146:147], s[12:13]
	v_add_f64 v[226:227], v[22:23], v[226:227]
	v_add_f64 v[222:223], v[222:223], v[239:240]
	v_mul_f64 v[239:240], v[140:141], s[24:25]
	v_add_f64 v[208:209], v[208:209], v[212:213]
	v_add_f64 v[231:232], v[243:244], v[231:232]
	;; [unrolled: 1-line block ×3, first 2 shown]
	v_mul_f64 v[243:244], v[130:131], s[18:19]
	v_add_f64 v[174:175], v[174:175], v[233:234]
	v_add_f64 v[224:225], v[224:225], v[226:227]
	v_mul_f64 v[212:213], v[134:135], s[6:7]
	v_add_f64 v[220:221], v[220:221], v[239:240]
	v_mul_f64 v[239:240], v[150:151], s[6:7]
	;; [unrolled: 2-line block ×3, first 2 shown]
	v_add_f64 v[176:177], v[176:177], v[243:244]
	v_add_f64 v[174:175], v[22:23], v[174:175]
	;; [unrolled: 1-line block ×3, first 2 shown]
	v_mul_f64 v[226:227], v[114:115], s[6:7]
	v_mul_f64 v[229:230], v[150:151], s[24:25]
	v_add_f64 v[216:217], v[216:217], v[239:240]
	v_mul_f64 v[239:240], v[154:155], s[12:13]
	v_add_f64 v[204:205], v[241:242], -v[204:205]
	v_add_f64 v[208:209], v[210:211], v[208:209]
	v_add_f64 v[174:175], v[98:99], v[174:175]
	;; [unrolled: 1-line block ×3, first 2 shown]
	buffer_load_dword v78, off, s[60:63], 0 offset:24 ; 4-byte Folded Reload
	buffer_load_dword v79, off, s[60:63], 0 offset:28 ; 4-byte Folded Reload
	v_add_f64 v[220:221], v[220:221], v[222:223]
	v_add_f64 v[206:207], v[212:213], -v[206:207]
	v_add_f64 v[218:219], v[218:219], v[239:240]
	v_mul_f64 v[239:240], v[142:143], s[12:13]
	v_mul_f64 v[212:213], v[166:167], s[20:21]
	v_add_f64 v[182:183], v[182:183], v[231:232]
	v_fma_f64 v[76:77], v[162:163], s[24:25], -v[96:97]
	v_add_f64 v[96:97], v[176:177], v[174:175]
	v_add_f64 v[216:217], v[216:217], v[220:221]
	v_mul_f64 v[224:225], v[120:121], s[18:19]
	v_add_f64 v[204:205], v[204:205], v[208:209]
	v_add_f64 v[214:215], v[239:240], -v[214:215]
	v_mul_f64 v[239:240], v[154:155], s[30:31]
	v_mul_f64 v[208:209], v[162:163], s[36:37]
	;; [unrolled: 1-line block ×3, first 2 shown]
	v_add_f64 v[176:177], v[198:199], v[212:213]
	v_add_f64 v[198:199], v[218:219], v[216:217]
	;; [unrolled: 1-line block ×3, first 2 shown]
	v_add_f64 v[100:101], v[226:227], -v[100:101]
	v_add_f64 v[96:97], v[182:183], v[96:97]
	v_mul_f64 v[222:223], v[126:127], s[20:21]
	v_mul_f64 v[237:238], v[166:167], s[36:37]
	;; [unrolled: 1-line block ×3, first 2 shown]
	v_add_f64 v[174:175], v[206:207], v[204:205]
	v_add_f64 v[182:183], v[202:203], v[231:232]
	;; [unrolled: 1-line block ×3, first 2 shown]
	v_add_f64 v[198:199], v[208:209], -v[200:201]
	v_add_f64 v[188:189], v[188:189], v[239:240]
	v_add_f64 v[200:201], v[224:225], -v[102:103]
	v_mul_f64 v[220:221], v[134:135], s[24:25]
	v_mul_f64 v[233:234], v[142:143], s[30:31]
	v_add_f64 v[196:197], v[210:211], -v[196:197]
	v_add_f64 v[174:175], v[214:215], v[174:175]
	v_add_f64 v[102:103], v[182:183], v[176:177]
	v_mul_f64 v[176:177], v[146:147], s[24:25]
	v_mul_f64 v[182:183], v[112:113], s[22:23]
	;; [unrolled: 1-line block ×3, first 2 shown]
	v_add_f64 v[172:173], v[220:221], -v[172:173]
	v_mul_f64 v[243:244], v[162:163], s[40:41]
	buffer_load_dword v229, off, s[60:63], 0 ; 4-byte Folded Reload
	buffer_load_dword v230, off, s[60:63], 0 offset:4 ; 4-byte Folded Reload
	v_add_f64 v[174:175], v[196:197], v[174:175]
	v_add_f64 v[186:187], v[243:244], -v[186:187]
	s_waitcnt vmcnt(2)
	v_add_f64 v[78:79], v[235:236], -v[78:79]
	v_add_f64 v[78:79], v[20:21], v[78:79]
	v_add_f64 v[78:79], v[100:101], v[78:79]
	v_add_f64 v[100:101], v[184:185], v[96:97]
	v_add_f64 v[96:97], v[76:77], v[105:106]
	v_add_f64 v[76:77], v[192:193], v[237:238]
	v_add_f64 v[105:106], v[222:223], -v[178:179]
	v_mul_f64 v[184:185], v[148:149], s[36:37]
	v_mul_f64 v[192:193], v[130:131], s[6:7]
	;; [unrolled: 1-line block ×3, first 2 shown]
	v_add_f64 v[78:79], v[200:201], v[78:79]
	v_add_f64 v[178:179], v[188:189], v[100:101]
	v_fma_f64 v[188:189], v[110:111], s[56:57], v[176:177]
	v_add_f64 v[100:101], v[198:199], v[174:175]
	v_add_f64 v[174:175], v[194:195], v[245:246]
	v_fma_f64 v[194:195], v[116:117], s[44:45], v[184:185]
	v_fma_f64 v[176:177], v[110:111], s[22:23], v[176:177]
	v_mul_f64 v[198:199], v[140:141], s[18:19]
	v_add_f64 v[78:79], v[105:106], v[78:79]
	v_add_f64 v[76:77], v[76:77], v[178:179]
	v_add_f64 v[105:106], v[233:234], -v[180:181]
	v_mul_f64 v[180:181], v[118:119], s[42:43]
	v_fma_f64 v[178:179], v[108:109], s[24:25], v[182:183]
	v_add_f64 v[188:189], v[22:23], v[188:189]
	v_fma_f64 v[200:201], v[122:123], s[10:11], v[192:193]
	v_fma_f64 v[184:185], v[116:117], s[42:43], v[184:185]
	v_add_f64 v[78:79], v[172:173], v[78:79]
	v_add_f64 v[172:173], v[241:242], -v[190:191]
	v_mul_f64 v[190:191], v[124:125], s[52:53]
	v_fma_f64 v[196:197], v[114:115], s[36:37], v[180:181]
	v_add_f64 v[178:179], v[20:21], v[178:179]
	v_add_f64 v[188:189], v[194:195], v[188:189]
	v_add_f64 v[176:177], v[22:23], v[176:177]
	v_fma_f64 v[202:203], v[128:129], s[14:15], v[198:199]
	v_add_f64 v[78:79], v[105:106], v[78:79]
	v_mul_f64 v[105:106], v[132:133], s[16:17]
	v_fma_f64 v[194:195], v[120:121], s[6:7], v[190:191]
	v_fma_f64 v[192:193], v[122:123], s[52:53], v[192:193]
	v_add_f64 v[178:179], v[196:197], v[178:179]
	v_mul_f64 v[196:197], v[150:151], s[40:41]
	v_add_f64 v[188:189], v[200:201], v[188:189]
	v_mul_f64 v[200:201], v[138:139], s[46:47]
	v_add_f64 v[176:177], v[184:185], v[176:177]
	v_fma_f64 v[204:205], v[126:127], s[18:19], v[105:106]
	v_fma_f64 v[198:199], v[128:129], s[16:17], v[198:199]
	v_mul_f64 v[184:185], v[166:167], s[12:13]
	v_add_f64 v[178:179], v[194:195], v[178:179]
	v_mul_f64 v[194:195], v[154:155], s[20:21]
	v_fma_f64 v[206:207], v[136:137], s[54:55], v[196:197]
	v_add_f64 v[188:189], v[202:203], v[188:189]
	v_mul_f64 v[202:203], v[152:153], s[48:49]
	v_fma_f64 v[208:209], v[134:135], s[40:41], v[200:201]
	v_add_f64 v[176:177], v[192:193], v[176:177]
	v_fma_f64 v[196:197], v[136:137], s[46:47], v[196:197]
	v_add_f64 v[178:179], v[204:205], v[178:179]
	v_fma_f64 v[204:205], v[144:145], s[38:39], v[194:195]
	v_mul_f64 v[192:193], v[170:171], s[30:31]
	v_add_f64 v[188:189], v[206:207], v[188:189]
	v_mul_f64 v[206:207], v[164:165], s[4:5]
	v_fma_f64 v[210:211], v[142:143], s[20:21], v[202:203]
	v_add_f64 v[176:177], v[198:199], v[176:177]
	v_add_f64 v[78:79], v[172:173], v[78:79]
	;; [unrolled: 1-line block ×3, first 2 shown]
	v_fma_f64 v[208:209], v[158:159], s[50:51], v[184:185]
	v_fma_f64 v[194:195], v[144:145], s[48:49], v[194:195]
	v_add_f64 v[188:189], v[204:205], v[188:189]
	v_mul_f64 v[204:205], v[168:169], s[26:27]
	v_fma_f64 v[212:213], v[156:157], s[12:13], v[206:207]
	v_add_f64 v[176:177], v[196:197], v[176:177]
	v_add_f64 v[174:175], v[174:175], v[76:77]
	;; [unrolled: 1-line block ×3, first 2 shown]
	v_fma_f64 v[76:77], v[108:109], s[24:25], -v[182:183]
	v_fma_f64 v[198:199], v[160:161], s[34:35], v[192:193]
	v_add_f64 v[188:189], v[208:209], v[188:189]
	v_fma_f64 v[208:209], v[162:163], s[30:31], v[204:205]
	v_add_f64 v[172:173], v[186:187], v[78:79]
	v_fma_f64 v[78:79], v[158:159], s[4:5], v[184:185]
	v_mul_f64 v[182:183], v[146:147], s[40:41]
	v_add_f64 v[196:197], v[212:213], v[178:179]
	v_add_f64 v[184:185], v[194:195], v[176:177]
	v_fma_f64 v[180:181], v[114:115], s[36:37], -v[180:181]
	v_mul_f64 v[186:187], v[112:113], s[54:55]
	v_add_f64 v[76:77], v[20:21], v[76:77]
	v_add_f64 v[178:179], v[198:199], v[188:189]
	v_fma_f64 v[188:189], v[160:161], s[26:27], v[192:193]
	v_mul_f64 v[192:193], v[148:149], s[12:13]
	v_add_f64 v[176:177], v[208:209], v[196:197]
	v_fma_f64 v[194:195], v[110:111], s[46:47], v[182:183]
	v_add_f64 v[78:79], v[78:79], v[184:185]
	v_fma_f64 v[184:185], v[120:121], s[6:7], -v[190:191]
	v_mul_f64 v[190:191], v[118:119], s[4:5]
	v_fma_f64 v[196:197], v[108:109], s[40:41], v[186:187]
	v_add_f64 v[76:77], v[180:181], v[76:77]
	v_fma_f64 v[180:181], v[116:117], s[50:51], v[192:193]
	v_fma_f64 v[105:106], v[126:127], s[18:19], -v[105:106]
	v_add_f64 v[194:195], v[22:23], v[194:195]
	v_mul_f64 v[208:209], v[124:125], s[42:43]
	v_fma_f64 v[224:225], v[110:111], s[54:55], v[182:183]
	v_fma_f64 v[210:211], v[114:115], s[12:13], v[190:191]
	v_add_f64 v[196:197], v[20:21], v[196:197]
	v_add_f64 v[76:77], v[184:185], v[76:77]
	v_mul_f64 v[198:199], v[130:131], s[36:37]
	v_add_f64 v[182:183], v[188:189], v[78:79]
	v_add_f64 v[180:181], v[180:181], v[194:195]
	v_fma_f64 v[194:195], v[134:135], s[40:41], -v[200:201]
	v_mul_f64 v[200:201], v[132:133], s[10:11]
	v_fma_f64 v[214:215], v[120:121], s[36:37], v[208:209]
	v_add_f64 v[196:197], v[210:211], v[196:197]
	v_add_f64 v[76:77], v[105:106], v[76:77]
	v_fma_f64 v[188:189], v[116:117], s[4:5], v[192:193]
	v_add_f64 v[192:193], v[22:23], v[224:225]
	v_fma_f64 v[186:187], v[108:109], s[40:41], -v[186:187]
	v_mul_f64 v[184:185], v[140:141], s[6:7]
	v_fma_f64 v[212:213], v[122:123], s[44:45], v[198:199]
	v_fma_f64 v[216:217], v[126:127], s[6:7], v[200:201]
	v_add_f64 v[196:197], v[214:215], v[196:197]
	v_add_f64 v[76:77], v[194:195], v[76:77]
	v_mul_f64 v[194:195], v[154:155], s[18:19]
	v_fma_f64 v[198:199], v[122:123], s[42:43], v[198:199]
	v_mul_f64 v[146:147], v[146:147], s[20:21]
	v_add_f64 v[188:189], v[188:189], v[192:193]
	v_fma_f64 v[190:191], v[114:115], s[12:13], -v[190:191]
	v_add_f64 v[186:187], v[20:21], v[186:187]
	v_mul_f64 v[105:106], v[150:151], s[30:31]
	v_fma_f64 v[210:211], v[128:129], s[52:53], v[184:185]
	v_add_f64 v[196:197], v[216:217], v[196:197]
	v_fma_f64 v[216:217], v[144:145], s[14:15], v[194:195]
	v_fma_f64 v[192:193], v[144:145], s[16:17], v[194:195]
	;; [unrolled: 1-line block ×3, first 2 shown]
	v_mul_f64 v[148:149], v[148:149], s[40:41]
	v_fma_f64 v[194:195], v[110:111], s[38:39], v[146:147]
	v_add_f64 v[188:189], v[198:199], v[188:189]
	v_fma_f64 v[198:199], v[120:121], s[36:37], -v[208:209]
	v_add_f64 v[186:187], v[190:191], v[186:187]
	v_fma_f64 v[110:111], v[110:111], s[48:49], v[146:147]
	v_mul_f64 v[118:119], v[118:119], s[54:55]
	v_add_f64 v[180:181], v[212:213], v[180:181]
	v_mul_f64 v[212:213], v[138:139], s[34:35]
	v_fma_f64 v[214:215], v[136:137], s[26:27], v[105:106]
	v_fma_f64 v[105:106], v[136:137], s[34:35], v[105:106]
	v_mul_f64 v[130:131], v[130:131], s[24:25]
	v_fma_f64 v[190:191], v[116:117], s[46:47], v[148:149]
	v_add_f64 v[194:195], v[22:23], v[194:195]
	v_add_f64 v[184:185], v[184:185], v[188:189]
	v_fma_f64 v[188:189], v[126:127], s[6:7], -v[200:201]
	v_add_f64 v[28:29], v[198:199], v[186:187]
	v_fma_f64 v[107:108], v[116:117], s[54:55], v[148:149]
	v_add_f64 v[22:23], v[22:23], v[110:111]
	v_fma_f64 v[109:110], v[114:115], s[40:41], -v[118:119]
	v_fma_f64 v[70:71], v[114:115], s[40:41], v[118:119]
	v_add_f64 v[20:21], v[20:21], v[64:65]
	v_fma_f64 v[202:203], v[142:143], s[20:21], -v[202:203]
	v_add_f64 v[180:181], v[210:211], v[180:181]
	v_mul_f64 v[210:211], v[152:153], s[16:17]
	v_fma_f64 v[140:141], v[122:123], s[56:57], v[130:131]
	v_add_f64 v[186:187], v[190:191], v[194:195]
	v_add_f64 v[105:106], v[105:106], v[184:185]
	v_fma_f64 v[184:185], v[134:135], s[30:31], -v[212:213]
	v_add_f64 v[28:29], v[188:189], v[28:29]
	v_mul_f64 v[132:133], v[132:133], s[4:5]
	v_fma_f64 v[64:65], v[122:123], s[22:23], v[130:131]
	v_add_f64 v[22:23], v[107:108], v[22:23]
	v_add_f64 v[60:61], v[109:110], v[68:69]
	;; [unrolled: 1-line block ×3, first 2 shown]
	v_fma_f64 v[206:207], v[156:157], s[12:13], -v[206:207]
	v_fma_f64 v[218:219], v[134:135], s[30:31], v[212:213]
	v_add_f64 v[76:77], v[202:203], v[76:77]
	v_mul_f64 v[202:203], v[166:167], s[24:25]
	v_add_f64 v[180:181], v[214:215], v[180:181]
	v_mul_f64 v[214:215], v[164:165], s[56:57]
	v_add_f64 v[140:141], v[140:141], v[186:187]
	v_fma_f64 v[150:151], v[142:143], s[18:19], -v[210:211]
	v_add_f64 v[28:29], v[184:185], v[28:29]
	v_mul_f64 v[112:113], v[138:139], s[14:15]
	v_add_f64 v[22:23], v[64:65], v[22:23]
	v_fma_f64 v[64:65], v[126:127], s[12:13], -v[132:133]
	v_add_f64 v[52:53], v[72:73], v[60:61]
	v_fma_f64 v[54:55], v[126:127], s[12:13], v[132:133]
	v_add_f64 v[20:21], v[62:63], v[20:21]
	v_fma_f64 v[204:205], v[162:163], s[30:31], -v[204:205]
	v_add_f64 v[196:197], v[218:219], v[196:197]
	v_add_f64 v[76:77], v[206:207], v[76:77]
	v_mul_f64 v[206:207], v[170:171], s[20:21]
	v_fma_f64 v[218:219], v[158:159], s[22:23], v[202:203]
	v_fma_f64 v[202:203], v[158:159], s[56:57], v[202:203]
	v_add_f64 v[105:106], v[192:193], v[105:106]
	v_add_f64 v[34:35], v[34:35], v[140:141]
	v_fma_f64 v[140:141], v[156:157], s[24:25], -v[214:215]
	v_add_f64 v[28:29], v[150:151], v[28:29]
	v_add_f64 v[22:23], v[30:31], v[22:23]
	v_fma_f64 v[30:31], v[134:135], s[18:19], -v[112:113]
	v_add_f64 v[42:43], v[64:65], v[52:53]
	v_fma_f64 v[48:49], v[134:135], s[18:19], v[112:113]
	v_add_f64 v[20:21], v[54:55], v[20:21]
	v_add_f64 v[216:217], v[216:217], v[180:181]
	;; [unrolled: 1-line block ×3, first 2 shown]
	v_fma_f64 v[76:77], v[160:161], s[48:49], v[206:207]
	v_fma_f64 v[206:207], v[160:161], s[38:39], v[206:207]
	v_add_f64 v[105:106], v[202:203], v[105:106]
	v_fma_f64 v[150:151], v[144:145], s[44:45], v[44:45]
	v_add_f64 v[28:29], v[140:141], v[28:29]
	v_mul_f64 v[140:141], v[164:165], s[26:27]
	v_fma_f64 v[44:45], v[144:145], s[42:43], v[44:45]
	v_add_f64 v[22:23], v[32:33], v[22:23]
	v_fma_f64 v[32:33], v[142:143], s[36:37], -v[66:67]
	v_add_f64 v[30:31], v[30:31], v[42:43]
	v_add_f64 v[20:21], v[48:49], v[20:21]
	;; [unrolled: 1-line block ×3, first 2 shown]
	v_mul_f64 v[105:106], v[168:169], s[10:11]
	v_fma_f64 v[42:43], v[156:157], s[30:31], -v[140:141]
	v_add_f64 v[34:35], v[46:47], v[34:35]
	v_add_f64 v[22:23], v[44:45], v[22:23]
	v_fma_f64 v[46:47], v[162:163], s[20:21], -v[222:223]
	v_add_f64 v[26:27], v[32:33], v[30:31]
	v_fma_f64 v[30:31], v[156:157], s[30:31], v[140:141]
	v_add_f64 v[20:21], v[38:39], v[20:21]
	v_fma_f64 v[32:33], v[160:161], s[10:11], v[56:57]
	v_fma_f64 v[36:37], v[162:163], s[6:7], -v[105:106]
	v_fma_f64 v[220:221], v[142:143], s[18:19], v[210:211]
	v_add_f64 v[22:23], v[40:41], v[22:23]
	v_fma_f64 v[226:227], v[156:157], s[24:25], v[214:215]
	v_add_f64 v[24:25], v[42:43], v[26:27]
	v_add_f64 v[34:35], v[150:151], v[34:35]
	;; [unrolled: 1-line block ×9, first 2 shown]
	ds_write_b128 v8, v[18:21]
	ds_write_b128 v8, v[10:13] offset:16
	ds_write_b128 v8, v[14:17] offset:32
	ds_write_b128 v8, v[180:183] offset:48
	ds_write_b128 v8, v[172:175] offset:64
	ds_write_b128 v8, v[100:103] offset:80
	ds_write_b128 v8, v[96:99] offset:96
	ds_write_b128 v8, v[88:91] offset:112
	ds_write_b128 v8, v[80:83] offset:128
	buffer_load_dword v9, off, s[60:63], 0 offset:8 ; 4-byte Folded Reload
	buffer_load_dword v10, off, s[60:63], 0 offset:12 ; 4-byte Folded Reload
	;; [unrolled: 1-line block ×4, first 2 shown]
	v_fma_f64 v[204:205], v[162:163], s[20:21], v[222:223]
	v_add_f64 v[196:197], v[226:227], v[196:197]
	v_fma_f64 v[26:27], v[160:161], s[52:53], v[56:57]
	v_add_f64 v[34:35], v[58:59], v[34:35]
	;; [unrolled: 2-line block ×3, first 2 shown]
	v_add_f64 v[22:23], v[204:205], v[196:197]
	v_add_f64 v[28:29], v[26:27], v[34:35]
	v_add_f64 v[26:27], v[38:39], v[30:31]
	s_waitcnt vmcnt(0)
	ds_write_b128 v8, v[9:12] offset:144
	ds_write_b128 v8, v[84:87] offset:160
	;; [unrolled: 1-line block ×8, first 2 shown]
.LBB0_13:
	s_or_b64 exec, exec, s[28:29]
	s_movk_i32 s4, 0xf1
	v_add_u16_e32 v56, 0x77, v104
	v_add_u32_e32 v16, 0xee, v104
	v_mul_lo_u16_sdwa v59, v104, s4 dst_sel:DWORD dst_unused:UNUSED_PAD src0_sel:BYTE_0 src1_sel:DWORD
	v_mul_lo_u16_sdwa v57, v56, s4 dst_sel:DWORD dst_unused:UNUSED_PAD src0_sel:BYTE_0 src1_sel:DWORD
	s_mov_b32 s4, 0xf0f1
	v_mul_u32_u24_sdwa v18, v16, s4 dst_sel:DWORD dst_unused:UNUSED_PAD src0_sel:WORD_0 src1_sel:DWORD
	v_lshrrev_b32_e32 v88, 20, v18
	v_lshrrev_b16_e32 v84, 12, v59
	v_mul_lo_u16_e32 v18, 17, v88
	v_add_u32_e32 v17, 0x165, v104
	v_add_u32_e32 v24, 0x1dc, v104
	v_mul_lo_u16_e32 v8, 17, v84
	v_sub_u16_e32 v16, v16, v18
	v_sub_u16_e32 v8, v104, v8
	v_mov_b32_e32 v58, 4
	v_lshrrev_b16_e32 v86, 12, v57
	v_lshlrev_b32_e32 v96, 4, v16
	v_mul_u32_u24_sdwa v16, v17, s4 dst_sel:DWORD dst_unused:UNUSED_PAD src0_sel:WORD_0 src1_sel:DWORD
	v_mul_u32_u24_sdwa v26, v24, s4 dst_sel:DWORD dst_unused:UNUSED_PAD src0_sel:WORD_0 src1_sel:DWORD
	v_lshlrev_b32_sdwa v85, v58, v8 dst_sel:DWORD dst_unused:UNUSED_PAD src0_sel:DWORD src1_sel:BYTE_0
	v_mul_lo_u16_e32 v8, 17, v86
	v_lshrrev_b32_e32 v97, 20, v16
	v_lshrrev_b32_e32 v99, 20, v26
	v_sub_u16_e32 v8, v56, v8
	v_mul_lo_u16_e32 v16, 17, v97
	v_mul_lo_u16_e32 v26, 17, v99
	s_waitcnt lgkmcnt(0)
	s_barrier
	v_add_u32_e32 v25, 0x253, v104
	v_lshlrev_b32_sdwa v87, v58, v8 dst_sel:DWORD dst_unused:UNUSED_PAD src0_sel:DWORD src1_sel:BYTE_0
	global_load_dwordx4 v[8:11], v85, s[8:9]
	global_load_dwordx4 v[12:15], v87, s[8:9]
	v_sub_u16_e32 v16, v17, v16
	v_sub_u16_e32 v24, v24, v26
	v_lshlrev_b32_e32 v98, 4, v16
	global_load_dwordx4 v[16:19], v96, s[8:9]
	global_load_dwordx4 v[20:23], v98, s[8:9]
	v_lshlrev_b32_e32 v100, 4, v24
	v_mul_u32_u24_sdwa v24, v25, s4 dst_sel:DWORD dst_unused:UNUSED_PAD src0_sel:WORD_0 src1_sel:DWORD
	v_lshrrev_b32_e32 v101, 20, v24
	v_mul_lo_u16_e32 v24, 17, v101
	v_sub_u16_e32 v28, v25, v24
	global_load_dwordx4 v[24:27], v100, s[8:9]
	v_lshlrev_b32_e32 v102, 4, v28
	global_load_dwordx4 v[28:31], v102, s[8:9]
	v_mul_u32_u24_e32 v84, 0x220, v84
	v_mul_u32_u24_e32 v86, 0x220, v86
	ds_read_b128 v[32:35], v228
	ds_read_b128 v[36:39], v228 offset:1904
	ds_read_b128 v[40:43], v228 offset:11424
	;; [unrolled: 1-line block ×11, first 2 shown]
	v_mul_u32_u24_e32 v103, 0x220, v88
	v_add3_u32 v105, 0, v84, v85
	v_add3_u32 v106, 0, v86, v87
	s_waitcnt vmcnt(0) lgkmcnt(0)
	s_barrier
	s_movk_i32 s4, 0x55
	v_cmp_gt_u32_e32 vcc, s4, v104
	v_mul_f64 v[84:85], v[42:43], v[10:11]
	v_mul_f64 v[10:11], v[40:41], v[10:11]
	;; [unrolled: 1-line block ×8, first 2 shown]
	v_fma_f64 v[40:41], v[40:41], v[8:9], -v[84:85]
	v_fma_f64 v[8:9], v[42:43], v[8:9], v[10:11]
	v_fma_f64 v[10:11], v[44:45], v[12:13], -v[86:87]
	v_mul_f64 v[92:93], v[78:79], v[26:27]
	v_mul_f64 v[26:27], v[76:77], v[26:27]
	;; [unrolled: 1-line block ×4, first 2 shown]
	v_fma_f64 v[12:13], v[46:47], v[12:13], v[14:15]
	v_fma_f64 v[14:15], v[60:61], v[16:17], -v[88:89]
	v_fma_f64 v[16:17], v[62:63], v[16:17], v[18:19]
	v_fma_f64 v[18:19], v[64:65], v[20:21], -v[90:91]
	;; [unrolled: 2-line block ×4, first 2 shown]
	v_fma_f64 v[60:61], v[82:83], v[28:29], v[30:31]
	v_add_f64 v[28:29], v[32:33], -v[40:41]
	v_add_f64 v[30:31], v[34:35], -v[8:9]
	;; [unrolled: 1-line block ×12, first 2 shown]
	v_fma_f64 v[32:33], v[32:33], 2.0, -v[28:29]
	v_fma_f64 v[34:35], v[34:35], 2.0, -v[30:31]
	;; [unrolled: 1-line block ×12, first 2 shown]
	ds_write_b128 v105, v[28:31] offset:272
	ds_write_b128 v105, v[32:35]
	ds_write_b128 v106, v[36:39]
	ds_write_b128 v106, v[40:43] offset:272
	v_add3_u32 v28, 0, v103, v96
	ds_write_b128 v28, v[48:51]
	ds_write_b128 v28, v[44:47] offset:272
	v_mul_u32_u24_e32 v28, 0x220, v97
	v_add3_u32 v28, 0, v28, v98
	ds_write_b128 v28, v[52:55]
	ds_write_b128 v28, v[8:11] offset:272
	v_mul_u32_u24_e32 v28, 0x220, v99
	;; [unrolled: 4-line block ×3, first 2 shown]
	v_add3_u32 v28, 0, v28, v102
	ds_write_b128 v28, v[24:27]
	ds_write_b128 v28, v[20:23] offset:272
	s_waitcnt lgkmcnt(0)
	s_barrier
	ds_read_b128 v[28:31], v228
	ds_read_b128 v[48:51], v228 offset:3264
	ds_read_b128 v[44:47], v228 offset:6528
	;; [unrolled: 1-line block ×6, first 2 shown]
	s_and_saveexec_b64 s[4:5], vcc
	s_cbranch_execz .LBB0_15
; %bb.14:
	ds_read_b128 v[8:11], v228 offset:1904
	ds_read_b128 v[12:15], v228 offset:5168
	;; [unrolled: 1-line block ×7, first 2 shown]
.LBB0_15:
	s_or_b64 exec, exec, s[4:5]
	v_lshrrev_b16_e32 v84, 13, v59
	v_mul_lo_u16_e32 v59, 34, v84
	v_sub_u16_e32 v85, v104, v59
	v_mov_b32_e32 v59, 6
	v_mul_u32_u24_sdwa v60, v85, v59 dst_sel:DWORD dst_unused:UNUSED_PAD src0_sel:BYTE_0 src1_sel:DWORD
	v_lshlrev_b32_e32 v86, 4, v60
	global_load_dwordx4 v[60:63], v86, s[8:9] offset:272
	global_load_dwordx4 v[64:67], v86, s[8:9] offset:288
	;; [unrolled: 1-line block ×6, first 2 shown]
	v_mul_u32_u24_e32 v84, 0xee0, v84
	v_lshlrev_b32_sdwa v58, v58, v85 dst_sel:DWORD dst_unused:UNUSED_PAD src0_sel:DWORD src1_sel:BYTE_0
	v_add3_u32 v58, 0, v84, v58
	s_mov_b32 s4, 0x37e14327
	s_mov_b32 s6, 0x36b3c0b5
	s_mov_b32 s14, 0xe976ee23
	s_mov_b32 s5, 0x3fe948f6
	s_mov_b32 s7, 0x3fac98ee
	s_mov_b32 s15, 0xbfe11646
	s_mov_b32 s10, 0x429ad128
	s_mov_b32 s11, 0x3febfeb5
	s_mov_b32 s12, 0xaaaaaaaa
	s_mov_b32 s16, 0x5476071b
	s_mov_b32 s20, 0xb247c609
	s_mov_b32 s13, 0xbff2aaaa
	s_mov_b32 s17, 0x3fe77f67
	s_mov_b32 s19, 0xbfe77f67
	s_mov_b32 s21, 0x3fd5d0dc
	s_mov_b32 s18, s16
	s_mov_b32 s25, 0xbfd5d0dc
	s_mov_b32 s24, s20
	s_mov_b32 s22, 0x37c3f68c
	s_mov_b32 s23, 0x3fdc38aa
	s_waitcnt vmcnt(0) lgkmcnt(0)
	s_barrier
	v_mul_f64 v[84:85], v[50:51], v[62:63]
	v_mul_f64 v[62:63], v[48:49], v[62:63]
	;; [unrolled: 1-line block ×12, first 2 shown]
	v_fma_f64 v[48:49], v[48:49], v[60:61], -v[84:85]
	v_fma_f64 v[50:51], v[50:51], v[60:61], v[62:63]
	v_fma_f64 v[44:45], v[44:45], v[64:65], -v[86:87]
	v_fma_f64 v[46:47], v[46:47], v[64:65], v[66:67]
	;; [unrolled: 2-line block ×6, first 2 shown]
	v_add_f64 v[60:61], v[48:49], v[52:53]
	v_add_f64 v[62:63], v[50:51], v[54:55]
	v_add_f64 v[48:49], v[48:49], -v[52:53]
	v_add_f64 v[50:51], v[50:51], -v[54:55]
	v_add_f64 v[52:53], v[44:45], v[40:41]
	v_add_f64 v[54:55], v[46:47], v[42:43]
	v_add_f64 v[40:41], v[44:45], -v[40:41]
	v_add_f64 v[42:43], v[46:47], -v[42:43]
	;; [unrolled: 4-line block ×4, first 2 shown]
	v_add_f64 v[60:61], v[60:61], -v[44:45]
	v_add_f64 v[62:63], v[62:63], -v[46:47]
	;; [unrolled: 1-line block ×4, first 2 shown]
	v_add_f64 v[68:69], v[32:33], v[40:41]
	v_add_f64 v[70:71], v[34:35], v[42:43]
	v_add_f64 v[72:73], v[32:33], -v[40:41]
	v_add_f64 v[74:75], v[34:35], -v[42:43]
	v_add_f64 v[36:37], v[44:45], v[36:37]
	v_add_f64 v[38:39], v[46:47], v[38:39]
	v_add_f64 v[40:41], v[40:41], -v[48:49]
	v_add_f64 v[42:43], v[42:43], -v[50:51]
	;; [unrolled: 1-line block ×4, first 2 shown]
	v_add_f64 v[44:45], v[68:69], v[48:49]
	v_add_f64 v[46:47], v[70:71], v[50:51]
	v_mul_f64 v[48:49], v[60:61], s[4:5]
	v_mul_f64 v[50:51], v[62:63], s[4:5]
	;; [unrolled: 1-line block ×6, first 2 shown]
	v_add_f64 v[28:29], v[28:29], v[36:37]
	v_add_f64 v[30:31], v[30:31], v[38:39]
	v_mul_f64 v[72:73], v[40:41], s[10:11]
	v_mul_f64 v[74:75], v[42:43], s[10:11]
	v_fma_f64 v[52:53], v[52:53], s[6:7], v[48:49]
	v_fma_f64 v[54:55], v[54:55], s[6:7], v[50:51]
	v_fma_f64 v[60:61], v[64:65], s[16:17], -v[60:61]
	v_fma_f64 v[62:63], v[66:67], s[16:17], -v[62:63]
	;; [unrolled: 1-line block ×4, first 2 shown]
	v_fma_f64 v[64:65], v[32:33], s[20:21], v[68:69]
	v_fma_f64 v[66:67], v[34:35], s[20:21], v[70:71]
	;; [unrolled: 1-line block ×4, first 2 shown]
	v_fma_f64 v[32:33], v[32:33], s[24:25], -v[72:73]
	v_fma_f64 v[34:35], v[34:35], s[24:25], -v[74:75]
	;; [unrolled: 1-line block ×4, first 2 shown]
	v_fma_f64 v[64:65], v[44:45], s[22:23], v[64:65]
	v_fma_f64 v[66:67], v[46:47], s[22:23], v[66:67]
	v_add_f64 v[52:53], v[52:53], v[36:37]
	v_add_f64 v[54:55], v[54:55], v[38:39]
	v_fma_f64 v[72:73], v[44:45], s[22:23], v[32:33]
	v_fma_f64 v[74:75], v[46:47], s[22:23], v[34:35]
	v_add_f64 v[48:49], v[48:49], v[36:37]
	v_add_f64 v[50:51], v[50:51], v[38:39]
	;; [unrolled: 4-line block ×3, first 2 shown]
	v_add_f64 v[32:33], v[66:67], v[52:53]
	v_add_f64 v[34:35], v[54:55], -v[64:65]
	v_add_f64 v[36:37], v[74:75], v[48:49]
	v_add_f64 v[38:39], v[50:51], -v[72:73]
	v_add_f64 v[48:49], v[48:49], -v[74:75]
	v_add_f64 v[50:51], v[72:73], v[50:51]
	v_add_f64 v[40:41], v[44:45], -v[70:71]
	v_add_f64 v[42:43], v[68:69], v[46:47]
	v_add_f64 v[44:45], v[70:71], v[44:45]
	v_add_f64 v[46:47], v[46:47], -v[68:69]
	v_add_f64 v[52:53], v[52:53], -v[66:67]
	v_add_f64 v[54:55], v[64:65], v[54:55]
	ds_write_b128 v58, v[28:31]
	ds_write_b128 v58, v[32:35] offset:544
	ds_write_b128 v58, v[36:39] offset:1088
	;; [unrolled: 1-line block ×6, first 2 shown]
	s_and_saveexec_b64 s[26:27], vcc
	s_cbranch_execz .LBB0_17
; %bb.16:
	v_lshrrev_b16_e32 v64, 13, v57
	v_mul_lo_u16_e32 v28, 34, v64
	v_sub_u16_e32 v65, v56, v28
	v_mul_u32_u24_sdwa v28, v65, v59 dst_sel:DWORD dst_unused:UNUSED_PAD src0_sel:BYTE_0 src1_sel:DWORD
	v_lshlrev_b32_e32 v52, 4, v28
	global_load_dwordx4 v[28:31], v52, s[8:9] offset:320
	global_load_dwordx4 v[32:35], v52, s[8:9] offset:304
	;; [unrolled: 1-line block ×6, first 2 shown]
	v_mov_b32_e32 v66, 4
	s_waitcnt vmcnt(5)
	v_mul_f64 v[52:53], v[22:23], v[30:31]
	s_waitcnt vmcnt(4)
	v_mul_f64 v[54:55], v[26:27], v[34:35]
	;; [unrolled: 2-line block ×6, first 2 shown]
	v_mul_f64 v[38:39], v[16:17], v[38:39]
	v_mul_f64 v[42:43], v[0:1], v[42:43]
	;; [unrolled: 1-line block ×6, first 2 shown]
	v_fma_f64 v[16:17], v[16:17], v[36:37], -v[56:57]
	v_fma_f64 v[0:1], v[0:1], v[40:41], -v[58:59]
	;; [unrolled: 1-line block ×4, first 2 shown]
	v_fma_f64 v[18:19], v[18:19], v[36:37], v[38:39]
	v_fma_f64 v[2:3], v[2:3], v[40:41], v[42:43]
	;; [unrolled: 1-line block ×4, first 2 shown]
	v_fma_f64 v[20:21], v[20:21], v[28:29], -v[52:53]
	v_fma_f64 v[24:25], v[24:25], v[32:33], -v[54:55]
	v_fma_f64 v[26:27], v[26:27], v[32:33], v[34:35]
	v_fma_f64 v[22:23], v[22:23], v[28:29], v[30:31]
	v_add_f64 v[30:31], v[16:17], -v[0:1]
	v_add_f64 v[32:33], v[12:13], -v[4:5]
	v_add_f64 v[36:37], v[18:19], v[2:3]
	v_add_f64 v[38:39], v[14:15], v[6:7]
	;; [unrolled: 1-line block ×4, first 2 shown]
	v_add_f64 v[28:29], v[20:21], -v[24:25]
	v_add_f64 v[34:35], v[26:27], v[22:23]
	v_add_f64 v[20:21], v[24:25], v[20:21]
	v_add_f64 v[12:13], v[22:23], -v[26:27]
	v_add_f64 v[2:3], v[18:19], -v[2:3]
	;; [unrolled: 1-line block ×3, first 2 shown]
	v_add_f64 v[26:27], v[36:37], v[38:39]
	v_add_f64 v[42:43], v[0:1], v[4:5]
	;; [unrolled: 1-line block ×3, first 2 shown]
	v_add_f64 v[16:17], v[28:29], -v[30:31]
	v_add_f64 v[18:19], v[32:33], -v[28:29]
	;; [unrolled: 1-line block ×6, first 2 shown]
	v_add_f64 v[44:45], v[12:13], v[2:3]
	v_add_f64 v[46:47], v[12:13], -v[2:3]
	v_add_f64 v[30:31], v[30:31], -v[32:33]
	;; [unrolled: 1-line block ×4, first 2 shown]
	v_add_f64 v[26:27], v[34:35], v[26:27]
	v_add_f64 v[20:21], v[20:21], v[42:43]
	v_add_f64 v[12:13], v[6:7], -v[12:13]
	v_add_f64 v[4:5], v[0:1], -v[4:5]
	v_add_f64 v[14:15], v[14:15], v[32:33]
	v_mul_f64 v[16:17], v[16:17], s[14:15]
	v_mul_f64 v[32:33], v[22:23], s[6:7]
	;; [unrolled: 1-line block ×4, first 2 shown]
	v_add_f64 v[6:7], v[44:45], v[6:7]
	v_mul_f64 v[42:43], v[46:47], s[14:15]
	v_mul_f64 v[44:45], v[30:31], s[10:11]
	;; [unrolled: 1-line block ×3, first 2 shown]
	v_add_f64 v[2:3], v[10:11], v[26:27]
	v_add_f64 v[0:1], v[8:9], v[20:21]
	v_mul_f64 v[34:35], v[28:29], s[6:7]
	v_fma_f64 v[48:49], v[18:19], s[20:21], v[16:17]
	v_fma_f64 v[22:23], v[22:23], s[6:7], v[24:25]
	;; [unrolled: 1-line block ×4, first 2 shown]
	v_fma_f64 v[18:19], v[18:19], s[24:25], -v[44:45]
	v_fma_f64 v[12:13], v[12:13], s[24:25], -v[46:47]
	v_fma_f64 v[32:33], v[36:37], s[16:17], -v[32:33]
	v_fma_f64 v[16:17], v[30:31], s[10:11], -v[16:17]
	v_fma_f64 v[26:27], v[26:27], s[12:13], v[2:3]
	v_fma_f64 v[30:31], v[38:39], s[10:11], -v[42:43]
	v_fma_f64 v[20:21], v[20:21], s[12:13], v[0:1]
	v_fma_f64 v[24:25], v[36:37], s[18:19], -v[24:25]
	v_fma_f64 v[28:29], v[4:5], s[18:19], -v[40:41]
	;; [unrolled: 1-line block ×3, first 2 shown]
	v_fma_f64 v[34:35], v[14:15], s[22:23], v[48:49]
	v_fma_f64 v[36:37], v[6:7], s[22:23], v[8:9]
	;; [unrolled: 1-line block ×3, first 2 shown]
	v_add_f64 v[38:39], v[22:23], v[26:27]
	v_add_f64 v[18:19], v[32:33], v[26:27]
	v_fma_f64 v[32:33], v[6:7], s[22:23], v[12:13]
	v_fma_f64 v[12:13], v[6:7], s[22:23], v[30:31]
	v_add_f64 v[30:31], v[10:11], v[20:21]
	v_add_f64 v[22:23], v[24:25], v[26:27]
	;; [unrolled: 1-line block ×3, first 2 shown]
	v_fma_f64 v[16:17], v[14:15], s[22:23], v[16:17]
	v_add_f64 v[4:5], v[4:5], v[20:21]
	v_add_f64 v[26:27], v[38:39], -v[34:35]
	v_mul_u32_u24_e32 v50, 0xee0, v64
	v_lshlrev_b32_sdwa v51, v66, v65 dst_sel:DWORD dst_unused:UNUSED_PAD src0_sel:DWORD src1_sel:BYTE_0
	v_add_f64 v[24:25], v[36:37], v[30:31]
	v_add_f64 v[10:11], v[8:9], v[22:23]
	v_add_f64 v[22:23], v[22:23], -v[8:9]
	v_add_f64 v[20:21], v[32:33], v[28:29]
	v_add_f64 v[14:15], v[18:19], -v[16:17]
	;; [unrolled: 2-line block ×5, first 2 shown]
	v_add3_u32 v28, 0, v50, v51
	ds_write_b128 v28, v[0:3]
	ds_write_b128 v28, v[24:27] offset:544
	ds_write_b128 v28, v[20:23] offset:1088
	;; [unrolled: 1-line block ×6, first 2 shown]
.LBB0_17:
	s_or_b64 exec, exec, s[26:27]
	v_mul_u32_u24_e32 v0, 5, v104
	v_lshlrev_b32_e32 v20, 4, v0
	v_mov_b32_e32 v8, s9
	v_add_co_u32_e32 v21, vcc, s8, v20
	s_waitcnt lgkmcnt(0)
	s_barrier
	global_load_dwordx4 v[0:3], v20, s[8:9] offset:3552
	global_load_dwordx4 v[4:7], v20, s[8:9] offset:3536
	v_addc_co_u32_e32 v22, vcc, 0, v8, vcc
	global_load_dwordx4 v[8:11], v20, s[8:9] offset:3584
	global_load_dwordx4 v[12:15], v20, s[8:9] offset:3568
	;; [unrolled: 1-line block ×3, first 2 shown]
	s_movk_i32 s4, 0x2530
	v_add_co_u32_e32 v40, vcc, s4, v21
	v_addc_co_u32_e32 v41, vcc, 0, v22, vcc
	global_load_dwordx4 v[20:23], v[40:41], off offset:3536
	global_load_dwordx4 v[24:27], v[40:41], off offset:3552
	;; [unrolled: 1-line block ×5, first 2 shown]
	ds_read_b128 v[40:43], v228
	ds_read_b128 v[44:47], v228 offset:1904
	ds_read_b128 v[48:51], v228 offset:3808
	;; [unrolled: 1-line block ×11, first 2 shown]
	s_mov_b32 s4, 0xe8584caa
	s_mov_b32 s5, 0x3febb67a
	s_mov_b32 s7, 0xbfebb67a
	s_mov_b32 s6, s4
	s_waitcnt vmcnt(0) lgkmcnt(0)
	s_barrier
	v_mov_b32_e32 v105, 0
	v_cmp_ne_u32_e32 vcc, 0, v104
	v_mul_f64 v[90:91], v[58:59], v[2:3]
	v_mul_f64 v[88:89], v[50:51], v[6:7]
	;; [unrolled: 1-line block ×12, first 2 shown]
	v_fma_f64 v[48:49], v[48:49], v[4:5], -v[88:89]
	v_fma_f64 v[4:5], v[50:51], v[4:5], v[6:7]
	v_fma_f64 v[6:7], v[56:57], v[0:1], -v[90:91]
	v_fma_f64 v[0:1], v[58:59], v[0:1], v[2:3]
	;; [unrolled: 2-line block ×5, first 2 shown]
	v_mul_f64 v[98:99], v[54:55], v[22:23]
	v_mul_f64 v[22:23], v[52:53], v[22:23]
	v_mul_f64 v[102:103], v[70:71], v[30:31]
	v_mul_f64 v[30:31], v[68:69], v[30:31]
	v_mul_f64 v[106:107], v[78:79], v[34:35]
	v_mul_f64 v[34:35], v[76:77], v[34:35]
	v_mul_f64 v[108:109], v[86:87], v[38:39]
	v_mul_f64 v[38:39], v[84:85], v[38:39]
	v_fma_f64 v[50:51], v[60:61], v[24:25], -v[100:101]
	v_fma_f64 v[24:25], v[62:63], v[24:25], v[26:27]
	v_add_f64 v[60:61], v[12:13], -v[16:17]
	v_add_f64 v[62:63], v[4:5], v[12:13]
	v_add_f64 v[12:13], v[12:13], v[16:17]
	v_fma_f64 v[18:19], v[52:53], v[20:21], -v[98:99]
	v_fma_f64 v[22:23], v[54:55], v[20:21], v[22:23]
	v_fma_f64 v[26:27], v[68:69], v[28:29], -v[102:103]
	v_fma_f64 v[28:29], v[70:71], v[28:29], v[30:31]
	;; [unrolled: 2-line block ×4, first 2 shown]
	v_add_f64 v[20:21], v[40:41], v[6:7]
	v_add_f64 v[38:39], v[6:7], v[14:15]
	;; [unrolled: 1-line block ×4, first 2 shown]
	v_add_f64 v[2:3], v[2:3], -v[10:11]
	v_fma_f64 v[4:5], v[12:13], -0.5, v[4:5]
	v_add_f64 v[6:7], v[6:7], -v[14:15]
	v_add_f64 v[52:53], v[0:1], -v[8:9]
	v_add_f64 v[14:15], v[20:21], v[14:15]
	v_fma_f64 v[20:21], v[38:39], -0.5, v[40:41]
	v_add_f64 v[54:55], v[42:43], v[0:1]
	v_fma_f64 v[12:13], v[58:59], -0.5, v[48:49]
	v_add_f64 v[0:1], v[0:1], v[8:9]
	v_fma_f64 v[38:39], v[2:3], s[6:7], v[4:5]
	v_add_f64 v[66:67], v[50:51], v[30:31]
	v_add_f64 v[72:73], v[26:27], v[34:35]
	;; [unrolled: 1-line block ×3, first 2 shown]
	v_fma_f64 v[2:3], v[2:3], s[4:5], v[4:5]
	v_add_f64 v[64:65], v[44:45], v[50:51]
	v_fma_f64 v[40:41], v[60:61], s[6:7], v[12:13]
	v_fma_f64 v[12:13], v[60:61], s[4:5], v[12:13]
	v_mul_f64 v[4:5], v[38:39], s[4:5]
	v_add_f64 v[74:75], v[28:29], -v[36:37]
	v_add_f64 v[48:49], v[26:27], -v[34:35]
	v_add_f64 v[8:9], v[54:55], v[8:9]
	v_fma_f64 v[0:1], v[0:1], -0.5, v[42:43]
	v_add_f64 v[10:11], v[56:57], v[10:11]
	v_add_f64 v[16:17], v[62:63], v[16:17]
	v_fma_f64 v[42:43], v[66:67], -0.5, v[44:45]
	v_fma_f64 v[44:45], v[72:73], -0.5, v[18:19]
	;; [unrolled: 1-line block ×3, first 2 shown]
	v_mul_f64 v[56:57], v[40:41], -0.5
	v_mul_f64 v[60:61], v[2:3], -0.5
	v_fma_f64 v[62:63], v[52:53], s[4:5], v[20:21]
	v_fma_f64 v[72:73], v[12:13], 0.5, v[4:5]
	v_add_f64 v[68:69], v[24:25], -v[32:33]
	v_add_f64 v[70:71], v[24:25], v[32:33]
	v_fma_f64 v[20:21], v[52:53], s[6:7], v[20:21]
	v_fma_f64 v[52:53], v[6:7], s[6:7], v[0:1]
	;; [unrolled: 1-line block ×5, first 2 shown]
	v_add_f64 v[2:3], v[8:9], v[16:17]
	v_add_f64 v[6:7], v[8:9], -v[16:17]
	v_add_f64 v[8:9], v[62:63], v[72:73]
	v_add_f64 v[16:17], v[62:63], -v[72:73]
	v_add_f64 v[24:25], v[46:47], v[24:25]
	v_fma_f64 v[60:61], v[48:49], s[6:7], v[54:55]
	v_fma_f64 v[62:63], v[74:75], s[6:7], v[44:45]
	;; [unrolled: 1-line block ×4, first 2 shown]
	v_mul_f64 v[58:59], v[12:13], s[6:7]
	v_add_f64 v[18:19], v[18:19], v[26:27]
	v_add_f64 v[22:23], v[22:23], v[28:29]
	;; [unrolled: 1-line block ×3, first 2 shown]
	v_add_f64 v[20:21], v[20:21], -v[56:57]
	v_add_f64 v[56:57], v[64:65], v[30:31]
	v_fma_f64 v[46:47], v[70:71], -0.5, v[46:47]
	v_add_f64 v[30:31], v[50:51], -v[30:31]
	v_add_f64 v[50:51], v[24:25], v[32:33]
	v_mul_f64 v[24:25], v[60:61], s[4:5]
	v_mul_f64 v[28:29], v[44:45], s[6:7]
	v_mul_f64 v[26:27], v[62:63], -0.5
	v_mul_f64 v[32:33], v[48:49], -0.5
	v_fma_f64 v[38:39], v[38:39], 0.5, v[58:59]
	v_fma_f64 v[58:59], v[68:69], s[4:5], v[42:43]
	v_fma_f64 v[42:43], v[68:69], s[6:7], v[42:43]
	v_add_f64 v[64:65], v[18:19], v[34:35]
	v_add_f64 v[68:69], v[22:23], v[36:37]
	v_fma_f64 v[54:55], v[30:31], s[6:7], v[46:47]
	v_fma_f64 v[44:45], v[44:45], 0.5, v[24:25]
	v_fma_f64 v[60:61], v[60:61], 0.5, v[28:29]
	v_add_f64 v[0:1], v[14:15], v[10:11]
	v_fma_f64 v[46:47], v[30:31], s[4:5], v[46:47]
	v_fma_f64 v[48:49], v[48:49], s[4:5], v[26:27]
	;; [unrolled: 1-line block ×3, first 2 shown]
	v_add_f64 v[4:5], v[14:15], -v[10:11]
	v_add_f64 v[10:11], v[52:53], v[38:39]
	v_add_f64 v[14:15], v[66:67], v[40:41]
	v_add_f64 v[18:19], v[52:53], -v[38:39]
	v_add_f64 v[22:23], v[66:67], -v[40:41]
	v_add_f64 v[24:25], v[56:57], v[64:65]
	v_add_f64 v[26:27], v[50:51], v[68:69]
	v_add_f64 v[28:29], v[58:59], v[44:45]
	v_add_f64 v[30:31], v[54:55], v[60:61]
	v_add_f64 v[32:33], v[42:43], v[48:49]
	v_add_f64 v[34:35], v[46:47], v[62:63]
	v_add_f64 v[36:37], v[56:57], -v[64:65]
	v_add_f64 v[40:41], v[58:59], -v[44:45]
	;; [unrolled: 1-line block ×6, first 2 shown]
	ds_write_b128 v228, v[0:3]
	ds_write_b128 v228, v[8:11] offset:3808
	ds_write_b128 v228, v[12:15] offset:7616
	;; [unrolled: 1-line block ×11, first 2 shown]
	s_waitcnt lgkmcnt(0)
	s_barrier
	ds_read_b128 v[4:7], v228
	s_add_u32 s6, s8, 0x5830
	v_lshlrev_b32_e32 v0, 4, v104
	s_addc_u32 s7, s9, 0
	v_sub_u32_e32 v14, 0, v0
                                        ; implicit-def: $vgpr0_vgpr1
                                        ; implicit-def: $vgpr8_vgpr9
                                        ; implicit-def: $vgpr10_vgpr11
                                        ; implicit-def: $vgpr12_vgpr13
	s_and_saveexec_b64 s[4:5], vcc
	s_xor_b64 s[4:5], exec, s[4:5]
	s_cbranch_execz .LBB0_19
; %bb.18:
	v_lshlrev_b64 v[0:1], 4, v[104:105]
	v_mov_b32_e32 v2, s7
	v_add_co_u32_e32 v0, vcc, s6, v0
	v_addc_co_u32_e32 v1, vcc, v2, v1, vcc
	global_load_dwordx4 v[15:18], v[0:1], off
	ds_read_b128 v[0:3], v14 offset:22848
	s_waitcnt lgkmcnt(0)
	v_add_f64 v[8:9], v[4:5], -v[0:1]
	v_add_f64 v[10:11], v[6:7], v[2:3]
	v_add_f64 v[2:3], v[6:7], -v[2:3]
	v_add_f64 v[0:1], v[4:5], v[0:1]
	v_mul_f64 v[6:7], v[8:9], 0.5
	v_mul_f64 v[4:5], v[10:11], 0.5
	;; [unrolled: 1-line block ×3, first 2 shown]
	s_waitcnt vmcnt(0)
	v_mul_f64 v[8:9], v[6:7], v[17:18]
	v_fma_f64 v[10:11], v[4:5], v[17:18], v[2:3]
	v_fma_f64 v[2:3], v[4:5], v[17:18], -v[2:3]
	v_fma_f64 v[12:13], v[0:1], 0.5, v[8:9]
	v_fma_f64 v[0:1], v[0:1], 0.5, -v[8:9]
	v_fma_f64 v[10:11], -v[15:16], v[6:7], v[10:11]
	v_fma_f64 v[2:3], -v[15:16], v[6:7], v[2:3]
	v_fma_f64 v[8:9], v[4:5], v[15:16], v[12:13]
	v_mov_b32_e32 v12, v104
	v_fma_f64 v[0:1], -v[4:5], v[15:16], v[0:1]
	v_mov_b32_e32 v13, v105
                                        ; implicit-def: $vgpr4_vgpr5
.LBB0_19:
	s_andn2_saveexec_b64 s[4:5], s[4:5]
	s_cbranch_execz .LBB0_21
; %bb.20:
	s_waitcnt lgkmcnt(0)
	v_add_f64 v[8:9], v[4:5], v[6:7]
	v_add_f64 v[0:1], v[4:5], -v[6:7]
	v_mov_b32_e32 v4, 0
	ds_read_b64 v[2:3], v4 offset:11432
	v_mov_b32_e32 v10, 0
	v_mov_b32_e32 v12, 0
	;; [unrolled: 1-line block ×4, first 2 shown]
	s_waitcnt lgkmcnt(0)
	v_xor_b32_e32 v3, 0x80000000, v3
	ds_write_b64 v4, v[2:3] offset:11432
	v_mov_b32_e32 v2, v10
	v_mov_b32_e32 v3, v11
.LBB0_21:
	s_or_b64 exec, exec, s[4:5]
	s_waitcnt lgkmcnt(0)
	v_lshlrev_b64 v[4:5], 4, v[12:13]
	v_mov_b32_e32 v6, s7
	v_add_co_u32_e32 v23, vcc, s6, v4
	v_addc_co_u32_e32 v24, vcc, v6, v5, vcc
	global_load_dwordx4 v[15:18], v[23:24], off offset:1904
	global_load_dwordx4 v[19:22], v[23:24], off offset:3808
	ds_write2_b64 v228, v[8:9], v[10:11] offset1:1
	ds_write_b128 v14, v[0:3] offset:22848
	ds_read_b128 v[0:3], v228 offset:1904
	ds_read_b128 v[6:9], v14 offset:20944
	s_movk_i32 s4, 0x1000
	v_add_co_u32_e32 v25, vcc, s4, v23
	v_addc_co_u32_e32 v26, vcc, 0, v24, vcc
	s_waitcnt lgkmcnt(0)
	v_add_f64 v[10:11], v[0:1], -v[6:7]
	v_add_f64 v[12:13], v[2:3], v[8:9]
	v_add_f64 v[2:3], v[2:3], -v[8:9]
	v_add_f64 v[0:1], v[0:1], v[6:7]
	s_movk_i32 s5, 0x2000
	v_mul_f64 v[8:9], v[10:11], 0.5
	v_mul_f64 v[10:11], v[12:13], 0.5
	v_mul_f64 v[2:3], v[2:3], 0.5
	s_waitcnt vmcnt(1)
	v_mul_f64 v[6:7], v[8:9], v[17:18]
	v_fma_f64 v[12:13], v[10:11], v[17:18], v[2:3]
	v_fma_f64 v[2:3], v[10:11], v[17:18], -v[2:3]
	v_fma_f64 v[17:18], v[0:1], 0.5, v[6:7]
	v_fma_f64 v[0:1], v[0:1], 0.5, -v[6:7]
	v_fma_f64 v[12:13], -v[15:16], v[8:9], v[12:13]
	v_fma_f64 v[2:3], -v[15:16], v[8:9], v[2:3]
	global_load_dwordx4 v[6:9], v[25:26], off offset:1616
	v_fma_f64 v[17:18], v[10:11], v[15:16], v[17:18]
	v_fma_f64 v[0:1], -v[10:11], v[15:16], v[0:1]
	ds_write2_b64 v228, v[17:18], v[12:13] offset0:238 offset1:239
	ds_write_b128 v14, v[0:3] offset:20944
	ds_read_b128 v[0:3], v228 offset:3808
	ds_read_b128 v[10:13], v14 offset:19040
	s_waitcnt lgkmcnt(0)
	v_add_f64 v[15:16], v[0:1], -v[10:11]
	v_add_f64 v[17:18], v[2:3], v[12:13]
	v_add_f64 v[2:3], v[2:3], -v[12:13]
	v_add_f64 v[0:1], v[0:1], v[10:11]
	v_mul_f64 v[12:13], v[15:16], 0.5
	v_mul_f64 v[15:16], v[17:18], 0.5
	;; [unrolled: 1-line block ×3, first 2 shown]
	s_waitcnt vmcnt(1)
	v_mul_f64 v[10:11], v[12:13], v[21:22]
	v_fma_f64 v[17:18], v[15:16], v[21:22], v[2:3]
	v_fma_f64 v[21:22], v[15:16], v[21:22], -v[2:3]
	v_fma_f64 v[27:28], v[0:1], 0.5, v[10:11]
	v_fma_f64 v[10:11], v[0:1], 0.5, -v[10:11]
	global_load_dwordx4 v[0:3], v[25:26], off offset:3520
	v_fma_f64 v[17:18], -v[19:20], v[12:13], v[17:18]
	v_fma_f64 v[12:13], -v[19:20], v[12:13], v[21:22]
	v_fma_f64 v[21:22], v[15:16], v[19:20], v[27:28]
	v_fma_f64 v[10:11], -v[15:16], v[19:20], v[10:11]
	v_add_u32_e32 v15, 0x800, v228
	ds_write2_b64 v15, v[21:22], v[17:18] offset0:220 offset1:221
	ds_write_b128 v14, v[10:13] offset:19040
	ds_read_b128 v[10:13], v228 offset:5712
	ds_read_b128 v[15:18], v14 offset:17136
	s_waitcnt lgkmcnt(0)
	v_add_f64 v[19:20], v[10:11], -v[15:16]
	v_add_f64 v[21:22], v[12:13], v[17:18]
	v_add_f64 v[12:13], v[12:13], -v[17:18]
	v_add_f64 v[10:11], v[10:11], v[15:16]
	v_mul_f64 v[17:18], v[19:20], 0.5
	v_mul_f64 v[19:20], v[21:22], 0.5
	;; [unrolled: 1-line block ×3, first 2 shown]
	s_waitcnt vmcnt(1)
	v_mul_f64 v[15:16], v[17:18], v[8:9]
	v_fma_f64 v[21:22], v[19:20], v[8:9], v[12:13]
	v_fma_f64 v[12:13], v[19:20], v[8:9], -v[12:13]
	v_add_co_u32_e32 v8, vcc, s5, v23
	v_addc_co_u32_e32 v9, vcc, 0, v24, vcc
	v_fma_f64 v[25:26], v[10:11], 0.5, v[15:16]
	v_fma_f64 v[15:16], v[10:11], 0.5, -v[15:16]
	global_load_dwordx4 v[8:11], v[8:9], off offset:1328
	v_fma_f64 v[21:22], -v[6:7], v[17:18], v[21:22]
	v_fma_f64 v[17:18], -v[6:7], v[17:18], v[12:13]
	v_fma_f64 v[12:13], v[19:20], v[6:7], v[25:26]
	v_fma_f64 v[15:16], -v[19:20], v[6:7], v[15:16]
	v_add_u32_e32 v6, 0x1000, v228
	ds_write2_b64 v6, v[12:13], v[21:22] offset0:202 offset1:203
	ds_write_b128 v14, v[15:18] offset:17136
	ds_read_b128 v[15:18], v228 offset:7616
	ds_read_b128 v[19:22], v14 offset:15232
	s_waitcnt lgkmcnt(0)
	v_add_f64 v[6:7], v[15:16], -v[19:20]
	v_add_f64 v[12:13], v[17:18], v[21:22]
	v_add_f64 v[17:18], v[17:18], -v[21:22]
	v_add_f64 v[15:16], v[15:16], v[19:20]
	v_mul_f64 v[6:7], v[6:7], 0.5
	v_mul_f64 v[12:13], v[12:13], 0.5
	;; [unrolled: 1-line block ×3, first 2 shown]
	s_waitcnt vmcnt(1)
	v_mul_f64 v[19:20], v[6:7], v[2:3]
	v_fma_f64 v[21:22], v[12:13], v[2:3], v[17:18]
	v_fma_f64 v[2:3], v[12:13], v[2:3], -v[17:18]
	v_fma_f64 v[17:18], v[15:16], 0.5, v[19:20]
	v_fma_f64 v[15:16], v[15:16], 0.5, -v[19:20]
	v_fma_f64 v[19:20], -v[0:1], v[6:7], v[21:22]
	v_fma_f64 v[2:3], -v[0:1], v[6:7], v[2:3]
	v_fma_f64 v[6:7], v[12:13], v[0:1], v[17:18]
	v_fma_f64 v[0:1], -v[12:13], v[0:1], v[15:16]
	v_add_u32_e32 v12, 0x1800, v228
	ds_write2_b64 v12, v[6:7], v[19:20] offset0:184 offset1:185
	ds_write_b128 v14, v[0:3] offset:15232
	ds_read_b128 v[0:3], v228 offset:9520
	ds_read_b128 v[15:18], v14 offset:13328
	s_waitcnt lgkmcnt(0)
	v_add_f64 v[6:7], v[0:1], -v[15:16]
	v_add_f64 v[12:13], v[2:3], v[17:18]
	v_add_f64 v[2:3], v[2:3], -v[17:18]
	v_add_f64 v[0:1], v[0:1], v[15:16]
	v_mul_f64 v[6:7], v[6:7], 0.5
	v_mul_f64 v[12:13], v[12:13], 0.5
	;; [unrolled: 1-line block ×3, first 2 shown]
	s_waitcnt vmcnt(0)
	v_mul_f64 v[15:16], v[6:7], v[10:11]
	v_fma_f64 v[17:18], v[12:13], v[10:11], v[2:3]
	v_fma_f64 v[2:3], v[12:13], v[10:11], -v[2:3]
	v_fma_f64 v[10:11], v[0:1], 0.5, v[15:16]
	v_fma_f64 v[0:1], v[0:1], 0.5, -v[15:16]
	v_fma_f64 v[15:16], -v[8:9], v[6:7], v[17:18]
	v_fma_f64 v[2:3], -v[8:9], v[6:7], v[2:3]
	v_fma_f64 v[6:7], v[12:13], v[8:9], v[10:11]
	v_fma_f64 v[0:1], -v[12:13], v[8:9], v[0:1]
	v_add_u32_e32 v8, 0x2000, v228
	ds_write2_b64 v8, v[6:7], v[15:16] offset0:166 offset1:167
	ds_write_b128 v14, v[0:3] offset:13328
	s_waitcnt lgkmcnt(0)
	s_barrier
	s_and_saveexec_b64 s[6:7], s[0:1]
	s_cbranch_execz .LBB0_24
; %bb.22:
	v_mov_b32_e32 v0, s3
	v_add_co_u32_e32 v1, vcc, s2, v229
	ds_read_b128 v[6:9], v228
	ds_read_b128 v[10:13], v228 offset:1904
	ds_read_b128 v[14:17], v228 offset:3808
	v_addc_co_u32_e32 v0, vcc, v0, v230, vcc
	v_add_co_u32_e32 v18, vcc, v1, v4
	v_addc_co_u32_e32 v19, vcc, v0, v5, vcc
	s_waitcnt lgkmcnt(2)
	global_store_dwordx4 v[18:19], v[6:9], off
	s_waitcnt lgkmcnt(1)
	global_store_dwordx4 v[18:19], v[10:13], off offset:1904
	ds_read_b128 v[2:5], v228 offset:5712
	ds_read_b128 v[6:9], v228 offset:7616
	v_add_co_u32_e32 v10, vcc, s4, v18
	v_addc_co_u32_e32 v11, vcc, 0, v19, vcc
	s_waitcnt lgkmcnt(1)
	global_store_dwordx4 v[10:11], v[2:5], off offset:1616
	ds_read_b128 v[2:5], v228 offset:9520
	s_waitcnt lgkmcnt(1)
	global_store_dwordx4 v[10:11], v[6:9], off offset:3520
	ds_read_b128 v[6:9], v228 offset:11424
	v_add_co_u32_e32 v10, vcc, s5, v18
	v_addc_co_u32_e32 v11, vcc, 0, v19, vcc
	s_waitcnt lgkmcnt(1)
	global_store_dwordx4 v[10:11], v[2:5], off offset:1328
	ds_read_b128 v[2:5], v228 offset:13328
	s_waitcnt lgkmcnt(1)
	global_store_dwordx4 v[10:11], v[6:9], off offset:3232
	ds_read_b128 v[6:9], v228 offset:15232
	s_movk_i32 s0, 0x3000
	v_add_co_u32_e32 v10, vcc, s0, v18
	v_addc_co_u32_e32 v11, vcc, 0, v19, vcc
	s_waitcnt lgkmcnt(1)
	global_store_dwordx4 v[10:11], v[2:5], off offset:1040
	ds_read_b128 v[2:5], v228 offset:17136
	s_waitcnt lgkmcnt(1)
	global_store_dwordx4 v[10:11], v[6:9], off offset:2944
	ds_read_b128 v[6:9], v228 offset:19040
	v_add_co_u32_e32 v10, vcc, 0x4000, v18
	v_addc_co_u32_e32 v11, vcc, 0, v19, vcc
	s_waitcnt lgkmcnt(1)
	global_store_dwordx4 v[10:11], v[2:5], off offset:752
	ds_read_b128 v[2:5], v228 offset:20944
	s_waitcnt lgkmcnt(1)
	global_store_dwordx4 v[10:11], v[6:9], off offset:2656
	s_movk_i32 s0, 0x76
	v_add_co_u32_e32 v6, vcc, 0x5000, v18
	v_addc_co_u32_e32 v7, vcc, 0, v19, vcc
	v_cmp_eq_u32_e32 vcc, s0, v104
	global_store_dwordx4 v[18:19], v[14:17], off offset:3808
	s_waitcnt lgkmcnt(0)
	global_store_dwordx4 v[6:7], v[2:5], off offset:464
	s_and_b64 exec, exec, vcc
	s_cbranch_execz .LBB0_24
; %bb.23:
	v_mov_b32_e32 v2, 0
	ds_read_b128 v[2:5], v2 offset:22848
	v_add_co_u32_e32 v6, vcc, 0x5000, v1
	v_addc_co_u32_e32 v7, vcc, 0, v0, vcc
	s_waitcnt lgkmcnt(0)
	global_store_dwordx4 v[6:7], v[2:5], off offset:2368
.LBB0_24:
	s_endpgm
	.section	.rodata,"a",@progbits
	.p2align	6, 0x0
	.amdhsa_kernel fft_rtc_fwd_len1428_factors_17_2_7_6_wgs_119_tpt_119_halfLds_dp_ip_CI_unitstride_sbrr_R2C_dirReg
		.amdhsa_group_segment_fixed_size 0
		.amdhsa_private_segment_fixed_size 36
		.amdhsa_kernarg_size 88
		.amdhsa_user_sgpr_count 6
		.amdhsa_user_sgpr_private_segment_buffer 1
		.amdhsa_user_sgpr_dispatch_ptr 0
		.amdhsa_user_sgpr_queue_ptr 0
		.amdhsa_user_sgpr_kernarg_segment_ptr 1
		.amdhsa_user_sgpr_dispatch_id 0
		.amdhsa_user_sgpr_flat_scratch_init 0
		.amdhsa_user_sgpr_private_segment_size 0
		.amdhsa_uses_dynamic_stack 0
		.amdhsa_system_sgpr_private_segment_wavefront_offset 1
		.amdhsa_system_sgpr_workgroup_id_x 1
		.amdhsa_system_sgpr_workgroup_id_y 0
		.amdhsa_system_sgpr_workgroup_id_z 0
		.amdhsa_system_sgpr_workgroup_info 0
		.amdhsa_system_vgpr_workitem_id 0
		.amdhsa_next_free_vgpr 255
		.amdhsa_next_free_sgpr 64
		.amdhsa_reserve_vcc 1
		.amdhsa_reserve_flat_scratch 0
		.amdhsa_float_round_mode_32 0
		.amdhsa_float_round_mode_16_64 0
		.amdhsa_float_denorm_mode_32 3
		.amdhsa_float_denorm_mode_16_64 3
		.amdhsa_dx10_clamp 1
		.amdhsa_ieee_mode 1
		.amdhsa_fp16_overflow 0
		.amdhsa_exception_fp_ieee_invalid_op 0
		.amdhsa_exception_fp_denorm_src 0
		.amdhsa_exception_fp_ieee_div_zero 0
		.amdhsa_exception_fp_ieee_overflow 0
		.amdhsa_exception_fp_ieee_underflow 0
		.amdhsa_exception_fp_ieee_inexact 0
		.amdhsa_exception_int_div_zero 0
	.end_amdhsa_kernel
	.text
.Lfunc_end0:
	.size	fft_rtc_fwd_len1428_factors_17_2_7_6_wgs_119_tpt_119_halfLds_dp_ip_CI_unitstride_sbrr_R2C_dirReg, .Lfunc_end0-fft_rtc_fwd_len1428_factors_17_2_7_6_wgs_119_tpt_119_halfLds_dp_ip_CI_unitstride_sbrr_R2C_dirReg
                                        ; -- End function
	.section	.AMDGPU.csdata,"",@progbits
; Kernel info:
; codeLenInByte = 14600
; NumSgprs: 68
; NumVgprs: 255
; ScratchSize: 36
; MemoryBound: 0
; FloatMode: 240
; IeeeMode: 1
; LDSByteSize: 0 bytes/workgroup (compile time only)
; SGPRBlocks: 8
; VGPRBlocks: 63
; NumSGPRsForWavesPerEU: 68
; NumVGPRsForWavesPerEU: 255
; Occupancy: 1
; WaveLimiterHint : 1
; COMPUTE_PGM_RSRC2:SCRATCH_EN: 1
; COMPUTE_PGM_RSRC2:USER_SGPR: 6
; COMPUTE_PGM_RSRC2:TRAP_HANDLER: 0
; COMPUTE_PGM_RSRC2:TGID_X_EN: 1
; COMPUTE_PGM_RSRC2:TGID_Y_EN: 0
; COMPUTE_PGM_RSRC2:TGID_Z_EN: 0
; COMPUTE_PGM_RSRC2:TIDIG_COMP_CNT: 0
	.type	__hip_cuid_e13cef04c76a5a89,@object ; @__hip_cuid_e13cef04c76a5a89
	.section	.bss,"aw",@nobits
	.globl	__hip_cuid_e13cef04c76a5a89
__hip_cuid_e13cef04c76a5a89:
	.byte	0                               ; 0x0
	.size	__hip_cuid_e13cef04c76a5a89, 1

	.ident	"AMD clang version 19.0.0git (https://github.com/RadeonOpenCompute/llvm-project roc-6.4.0 25133 c7fe45cf4b819c5991fe208aaa96edf142730f1d)"
	.section	".note.GNU-stack","",@progbits
	.addrsig
	.addrsig_sym __hip_cuid_e13cef04c76a5a89
	.amdgpu_metadata
---
amdhsa.kernels:
  - .args:
      - .actual_access:  read_only
        .address_space:  global
        .offset:         0
        .size:           8
        .value_kind:     global_buffer
      - .offset:         8
        .size:           8
        .value_kind:     by_value
      - .actual_access:  read_only
        .address_space:  global
        .offset:         16
        .size:           8
        .value_kind:     global_buffer
      - .actual_access:  read_only
        .address_space:  global
        .offset:         24
        .size:           8
        .value_kind:     global_buffer
      - .offset:         32
        .size:           8
        .value_kind:     by_value
      - .actual_access:  read_only
        .address_space:  global
        .offset:         40
        .size:           8
        .value_kind:     global_buffer
      - .actual_access:  read_only
        .address_space:  global
        .offset:         48
        .size:           8
        .value_kind:     global_buffer
      - .offset:         56
        .size:           4
        .value_kind:     by_value
      - .actual_access:  read_only
        .address_space:  global
        .offset:         64
        .size:           8
        .value_kind:     global_buffer
      - .actual_access:  read_only
        .address_space:  global
        .offset:         72
        .size:           8
        .value_kind:     global_buffer
      - .address_space:  global
        .offset:         80
        .size:           8
        .value_kind:     global_buffer
    .group_segment_fixed_size: 0
    .kernarg_segment_align: 8
    .kernarg_segment_size: 88
    .language:       OpenCL C
    .language_version:
      - 2
      - 0
    .max_flat_workgroup_size: 119
    .name:           fft_rtc_fwd_len1428_factors_17_2_7_6_wgs_119_tpt_119_halfLds_dp_ip_CI_unitstride_sbrr_R2C_dirReg
    .private_segment_fixed_size: 36
    .sgpr_count:     68
    .sgpr_spill_count: 0
    .symbol:         fft_rtc_fwd_len1428_factors_17_2_7_6_wgs_119_tpt_119_halfLds_dp_ip_CI_unitstride_sbrr_R2C_dirReg.kd
    .uniform_work_group_size: 1
    .uses_dynamic_stack: false
    .vgpr_count:     255
    .vgpr_spill_count: 8
    .wavefront_size: 64
amdhsa.target:   amdgcn-amd-amdhsa--gfx906
amdhsa.version:
  - 1
  - 2
...

	.end_amdgpu_metadata
